;; amdgpu-corpus repo=ROCm/rocFFT kind=compiled arch=gfx906 opt=O3
	.text
	.amdgcn_target "amdgcn-amd-amdhsa--gfx906"
	.amdhsa_code_object_version 6
	.protected	fft_rtc_fwd_len169_factors_13_13_wgs_156_tpt_13_half_ip_CI_sbcc_twdbase8_2step ; -- Begin function fft_rtc_fwd_len169_factors_13_13_wgs_156_tpt_13_half_ip_CI_sbcc_twdbase8_2step
	.globl	fft_rtc_fwd_len169_factors_13_13_wgs_156_tpt_13_half_ip_CI_sbcc_twdbase8_2step
	.p2align	8
	.type	fft_rtc_fwd_len169_factors_13_13_wgs_156_tpt_13_half_ip_CI_sbcc_twdbase8_2step,@function
fft_rtc_fwd_len169_factors_13_13_wgs_156_tpt_13_half_ip_CI_sbcc_twdbase8_2step: ; @fft_rtc_fwd_len169_factors_13_13_wgs_156_tpt_13_half_ip_CI_sbcc_twdbase8_2step
; %bb.0:
	s_load_dwordx4 s[0:3], s[4:5], 0x18
	s_mov_b32 s7, 0
	s_mov_b64 s[24:25], 0
	s_waitcnt lgkmcnt(0)
	s_load_dwordx2 s[20:21], s[0:1], 0x8
	s_waitcnt lgkmcnt(0)
	s_add_u32 s8, s20, -1
	s_addc_u32 s9, s21, -1
	s_add_u32 s10, 0, 0x55540000
	s_addc_u32 s11, 0, 0x55
	s_mul_hi_u32 s13, s10, -12
	s_add_i32 s11, s11, 0x15555500
	s_sub_i32 s13, s13, s10
	s_mul_i32 s16, s11, -12
	s_mul_i32 s12, s10, -12
	s_add_i32 s13, s13, s16
	s_mul_hi_u32 s14, s11, s12
	s_mul_i32 s15, s11, s12
	s_mul_i32 s17, s10, s13
	s_mul_hi_u32 s12, s10, s12
	s_mul_hi_u32 s16, s10, s13
	s_add_u32 s12, s12, s17
	s_addc_u32 s16, 0, s16
	s_add_u32 s12, s12, s15
	s_mul_hi_u32 s17, s11, s13
	s_addc_u32 s12, s16, s14
	s_addc_u32 s14, s17, 0
	s_mul_i32 s13, s11, s13
	s_add_u32 s12, s12, s13
	v_mov_b32_e32 v1, s12
	s_addc_u32 s13, 0, s14
	v_add_co_u32_e32 v1, vcc, s10, v1
	s_cmp_lg_u64 vcc, 0
	s_addc_u32 s10, s11, s13
	v_readfirstlane_b32 s13, v1
	s_mul_i32 s12, s8, s10
	s_mul_hi_u32 s14, s8, s13
	s_mul_hi_u32 s11, s8, s10
	s_add_u32 s12, s14, s12
	s_addc_u32 s11, 0, s11
	s_mul_hi_u32 s15, s9, s13
	s_mul_i32 s13, s9, s13
	s_add_u32 s12, s12, s13
	s_mul_hi_u32 s14, s9, s10
	s_addc_u32 s11, s11, s15
	s_addc_u32 s12, s14, 0
	s_mul_i32 s10, s9, s10
	s_add_u32 s10, s11, s10
	s_addc_u32 s11, 0, s12
	s_add_u32 s12, s10, 1
	s_addc_u32 s13, s11, 0
	s_add_u32 s14, s10, 2
	s_mul_i32 s16, s11, 12
	s_mul_hi_u32 s17, s10, 12
	s_addc_u32 s15, s11, 0
	s_add_i32 s17, s17, s16
	s_mul_i32 s16, s10, 12
	v_mov_b32_e32 v1, s16
	v_sub_co_u32_e32 v1, vcc, s8, v1
	s_cmp_lg_u64 vcc, 0
	s_subb_u32 s8, s9, s17
	v_subrev_co_u32_e32 v2, vcc, 12, v1
	s_cmp_lg_u64 vcc, 0
	s_subb_u32 s9, s8, 0
	v_readfirstlane_b32 s16, v2
	s_cmp_gt_u32 s16, 11
	s_cselect_b32 s16, -1, 0
	s_cmp_eq_u32 s9, 0
	s_cselect_b32 s9, s16, -1
	s_cmp_lg_u32 s9, 0
	s_cselect_b32 s9, s14, s12
	s_cselect_b32 s12, s15, s13
	v_readfirstlane_b32 s13, v1
	s_cmp_gt_u32 s13, 11
	s_cselect_b32 s13, -1, 0
	s_cmp_eq_u32 s8, 0
	s_cselect_b32 s8, s13, -1
	s_cmp_lg_u32 s8, 0
	s_cselect_b32 s9, s9, s10
	s_cselect_b32 s8, s12, s11
	s_add_u32 s22, s9, 1
	s_addc_u32 s23, s8, 0
	v_mov_b32_e32 v1, s22
	v_mov_b32_e32 v2, s23
	v_cmp_lt_u64_e32 vcc, s[6:7], v[1:2]
	s_cbranch_vccnz .LBB0_2
; %bb.1:
	v_cvt_f32_u32_e32 v1, s22
	s_sub_i32 s8, 0, s22
	s_mov_b32 s25, s7
	v_rcp_iflag_f32_e32 v1, v1
	v_mul_f32_e32 v1, 0x4f7ffffe, v1
	v_cvt_u32_f32_e32 v1, v1
	v_readfirstlane_b32 s9, v1
	s_mul_i32 s8, s8, s9
	s_mul_hi_u32 s8, s9, s8
	s_add_i32 s9, s9, s8
	s_mul_hi_u32 s8, s6, s9
	s_mul_i32 s10, s8, s22
	s_sub_i32 s10, s6, s10
	s_add_i32 s9, s8, 1
	s_sub_i32 s11, s10, s22
	s_cmp_ge_u32 s10, s22
	s_cselect_b32 s8, s9, s8
	s_cselect_b32 s10, s11, s10
	s_add_i32 s9, s8, 1
	s_cmp_ge_u32 s10, s22
	s_cselect_b32 s24, s9, s8
.LBB0_2:
	s_load_dwordx2 s[16:17], s[4:5], 0x58
	s_load_dwordx4 s[8:11], s[2:3], 0x0
	s_load_dwordx2 s[18:19], s[4:5], 0x0
	s_load_dwordx4 s[12:15], s[4:5], 0x8
	s_mul_i32 s4, s24, s23
	s_mul_hi_u32 s5, s24, s22
	s_add_i32 s5, s5, s4
	s_mul_i32 s4, s24, s22
	s_sub_u32 s38, s6, s4
	s_subb_u32 s4, 0, s5
	s_mul_i32 s4, s4, 12
	s_mul_hi_u32 s33, s38, 12
	s_add_i32 s33, s33, s4
	s_mul_i32 s38, s38, 12
	s_waitcnt lgkmcnt(0)
	s_mul_i32 s4, s10, s33
	s_mul_hi_u32 s5, s10, s38
	s_add_i32 s4, s5, s4
	s_mul_i32 s5, s11, s38
	s_add_i32 s39, s4, s5
	v_cmp_lt_u64_e64 s[4:5], s[14:15], 3
	s_mul_i32 s40, s10, s38
	s_and_b64 vcc, exec, s[4:5]
	s_cbranch_vccnz .LBB0_12
; %bb.3:
	s_add_u32 s4, s2, 16
	s_addc_u32 s5, s3, 0
	s_add_u32 s26, s0, 16
	v_mov_b32_e32 v1, s14
	s_addc_u32 s27, s1, 0
	s_mov_b64 s[28:29], 2
	s_mov_b32 s30, 0
	v_mov_b32_e32 v2, s15
.LBB0_4:                                ; =>This Inner Loop Header: Depth=1
	s_load_dwordx2 s[34:35], s[26:27], 0x0
	s_waitcnt lgkmcnt(0)
	s_or_b64 s[0:1], s[24:25], s[34:35]
	s_mov_b32 s31, s1
	s_cmp_lg_u64 s[30:31], 0
	s_cbranch_scc0 .LBB0_9
; %bb.5:                                ;   in Loop: Header=BB0_4 Depth=1
	v_cvt_f32_u32_e32 v3, s34
	v_cvt_f32_u32_e32 v4, s35
	s_sub_u32 s0, 0, s34
	s_subb_u32 s1, 0, s35
	v_mac_f32_e32 v3, 0x4f800000, v4
	v_rcp_f32_e32 v3, v3
	v_mul_f32_e32 v3, 0x5f7ffffc, v3
	v_mul_f32_e32 v4, 0x2f800000, v3
	v_trunc_f32_e32 v4, v4
	v_mac_f32_e32 v3, 0xcf800000, v4
	v_cvt_u32_f32_e32 v4, v4
	v_cvt_u32_f32_e32 v3, v3
	v_readfirstlane_b32 s31, v4
	v_readfirstlane_b32 s36, v3
	s_mul_i32 s37, s0, s31
	s_mul_hi_u32 s42, s0, s36
	s_mul_i32 s41, s1, s36
	s_add_i32 s37, s42, s37
	s_mul_i32 s43, s0, s36
	s_add_i32 s37, s37, s41
	s_mul_hi_u32 s41, s36, s37
	s_mul_i32 s42, s36, s37
	s_mul_hi_u32 s36, s36, s43
	s_add_u32 s36, s36, s42
	s_addc_u32 s41, 0, s41
	s_mul_hi_u32 s44, s31, s43
	s_mul_i32 s43, s31, s43
	s_add_u32 s36, s36, s43
	s_mul_hi_u32 s42, s31, s37
	s_addc_u32 s36, s41, s44
	s_addc_u32 s41, s42, 0
	s_mul_i32 s37, s31, s37
	s_add_u32 s36, s36, s37
	s_addc_u32 s37, 0, s41
	v_add_co_u32_e32 v3, vcc, s36, v3
	s_cmp_lg_u64 vcc, 0
	s_addc_u32 s31, s31, s37
	v_readfirstlane_b32 s37, v3
	s_mul_i32 s36, s0, s31
	s_mul_hi_u32 s41, s0, s37
	s_add_i32 s36, s41, s36
	s_mul_i32 s1, s1, s37
	s_add_i32 s36, s36, s1
	s_mul_i32 s0, s0, s37
	s_mul_hi_u32 s41, s31, s0
	s_mul_i32 s42, s31, s0
	s_mul_i32 s44, s37, s36
	s_mul_hi_u32 s0, s37, s0
	s_mul_hi_u32 s43, s37, s36
	s_add_u32 s0, s0, s44
	s_addc_u32 s37, 0, s43
	s_add_u32 s0, s0, s42
	s_mul_hi_u32 s1, s31, s36
	s_addc_u32 s0, s37, s41
	s_addc_u32 s1, s1, 0
	s_mul_i32 s36, s31, s36
	s_add_u32 s0, s0, s36
	s_addc_u32 s1, 0, s1
	v_add_co_u32_e32 v3, vcc, s0, v3
	s_cmp_lg_u64 vcc, 0
	s_addc_u32 s0, s31, s1
	v_readfirstlane_b32 s36, v3
	s_mul_i32 s31, s24, s0
	s_mul_hi_u32 s37, s24, s36
	s_mul_hi_u32 s1, s24, s0
	s_add_u32 s31, s37, s31
	s_addc_u32 s1, 0, s1
	s_mul_hi_u32 s41, s25, s36
	s_mul_i32 s36, s25, s36
	s_add_u32 s31, s31, s36
	s_mul_hi_u32 s37, s25, s0
	s_addc_u32 s1, s1, s41
	s_addc_u32 s31, s37, 0
	s_mul_i32 s0, s25, s0
	s_add_u32 s36, s1, s0
	s_addc_u32 s31, 0, s31
	s_mul_i32 s0, s34, s31
	s_mul_hi_u32 s1, s34, s36
	s_add_i32 s0, s1, s0
	s_mul_i32 s1, s35, s36
	s_add_i32 s37, s0, s1
	s_mul_i32 s1, s34, s36
	v_mov_b32_e32 v3, s1
	s_sub_i32 s0, s25, s37
	v_sub_co_u32_e32 v3, vcc, s24, v3
	s_cmp_lg_u64 vcc, 0
	s_subb_u32 s41, s0, s35
	v_subrev_co_u32_e64 v4, s[0:1], s34, v3
	s_cmp_lg_u64 s[0:1], 0
	s_subb_u32 s0, s41, 0
	s_cmp_ge_u32 s0, s35
	v_readfirstlane_b32 s41, v4
	s_cselect_b32 s1, -1, 0
	s_cmp_ge_u32 s41, s34
	s_cselect_b32 s41, -1, 0
	s_cmp_eq_u32 s0, s35
	s_cselect_b32 s0, s41, s1
	s_add_u32 s1, s36, 1
	s_addc_u32 s41, s31, 0
	s_add_u32 s42, s36, 2
	s_addc_u32 s43, s31, 0
	s_cmp_lg_u32 s0, 0
	s_cselect_b32 s0, s42, s1
	s_cselect_b32 s1, s43, s41
	s_cmp_lg_u64 vcc, 0
	s_subb_u32 s37, s25, s37
	s_cmp_ge_u32 s37, s35
	v_readfirstlane_b32 s42, v3
	s_cselect_b32 s41, -1, 0
	s_cmp_ge_u32 s42, s34
	s_cselect_b32 s42, -1, 0
	s_cmp_eq_u32 s37, s35
	s_cselect_b32 s37, s42, s41
	s_cmp_lg_u32 s37, 0
	s_cselect_b32 s1, s1, s31
	s_cselect_b32 s0, s0, s36
	s_cbranch_execnz .LBB0_7
.LBB0_6:                                ;   in Loop: Header=BB0_4 Depth=1
	v_cvt_f32_u32_e32 v3, s34
	s_sub_i32 s0, 0, s34
	v_rcp_iflag_f32_e32 v3, v3
	v_mul_f32_e32 v3, 0x4f7ffffe, v3
	v_cvt_u32_f32_e32 v3, v3
	v_readfirstlane_b32 s1, v3
	s_mul_i32 s0, s0, s1
	s_mul_hi_u32 s0, s1, s0
	s_add_i32 s1, s1, s0
	s_mul_hi_u32 s0, s24, s1
	s_mul_i32 s31, s0, s34
	s_sub_i32 s31, s24, s31
	s_add_i32 s1, s0, 1
	s_sub_i32 s36, s31, s34
	s_cmp_ge_u32 s31, s34
	s_cselect_b32 s0, s1, s0
	s_cselect_b32 s31, s36, s31
	s_add_i32 s1, s0, 1
	s_cmp_ge_u32 s31, s34
	s_cselect_b32 s0, s1, s0
	s_mov_b32 s1, s30
.LBB0_7:                                ;   in Loop: Header=BB0_4 Depth=1
	s_mul_i32 s23, s34, s23
	s_mul_hi_u32 s31, s34, s22
	s_add_i32 s23, s31, s23
	s_mul_i32 s31, s35, s22
	s_add_i32 s23, s23, s31
	s_mul_i32 s31, s0, s35
	s_mul_hi_u32 s35, s0, s34
	s_load_dwordx2 s[36:37], s[4:5], 0x0
	s_add_i32 s31, s35, s31
	s_mul_i32 s35, s1, s34
	s_mul_i32 s22, s34, s22
	s_add_i32 s31, s31, s35
	s_mul_i32 s34, s0, s34
	s_sub_u32 s24, s24, s34
	s_subb_u32 s25, s25, s31
	s_waitcnt lgkmcnt(0)
	s_mul_i32 s25, s36, s25
	s_mul_hi_u32 s31, s36, s24
	s_add_i32 s25, s31, s25
	s_mul_i32 s31, s37, s24
	s_add_i32 s25, s25, s31
	s_mul_i32 s24, s36, s24
	s_add_u32 s40, s24, s40
	s_addc_u32 s39, s25, s39
	s_add_u32 s28, s28, 1
	s_addc_u32 s29, s29, 0
	;; [unrolled: 2-line block ×3, first 2 shown]
	v_cmp_ge_u64_e32 vcc, s[28:29], v[1:2]
	s_add_u32 s26, s26, 8
	s_addc_u32 s27, s27, 0
	s_cbranch_vccnz .LBB0_10
; %bb.8:                                ;   in Loop: Header=BB0_4 Depth=1
	s_mov_b64 s[24:25], s[0:1]
	s_branch .LBB0_4
.LBB0_9:                                ;   in Loop: Header=BB0_4 Depth=1
                                        ; implicit-def: $sgpr0_sgpr1
	s_branch .LBB0_6
.LBB0_10:
	v_mov_b32_e32 v1, s22
	v_mov_b32_e32 v2, s23
	v_cmp_lt_u64_e32 vcc, s[6:7], v[1:2]
	s_mov_b64 s[24:25], 0
	s_cbranch_vccnz .LBB0_12
; %bb.11:
	v_cvt_f32_u32_e32 v1, s22
	s_sub_i32 s0, 0, s22
	v_rcp_iflag_f32_e32 v1, v1
	v_mul_f32_e32 v1, 0x4f7ffffe, v1
	v_cvt_u32_f32_e32 v1, v1
	v_readfirstlane_b32 s1, v1
	s_mul_i32 s0, s0, s1
	s_mul_hi_u32 s0, s1, s0
	s_add_i32 s1, s1, s0
	s_mul_hi_u32 s0, s6, s1
	s_mul_i32 s4, s0, s22
	s_sub_i32 s4, s6, s4
	s_add_i32 s1, s0, 1
	s_sub_i32 s5, s4, s22
	s_cmp_ge_u32 s4, s22
	s_cselect_b32 s0, s1, s0
	s_cselect_b32 s4, s5, s4
	s_add_i32 s1, s0, 1
	s_cmp_ge_u32 s4, s22
	s_cselect_b32 s24, s1, s0
.LBB0_12:
	s_lshl_b64 s[0:1], s[14:15], 3
	s_add_u32 s0, s2, s0
	s_addc_u32 s1, s3, s1
	s_load_dwordx2 s[0:1], s[0:1], 0x0
	v_mov_b32_e32 v1, s20
	v_mul_u32_u24_e32 v3, 0x1556, v0
	v_mov_b32_e32 v2, s21
	v_lshrrev_b32_e32 v4, 16, v3
	s_waitcnt lgkmcnt(0)
	s_mul_i32 s1, s1, s24
	s_mul_hi_u32 s2, s0, s24
	s_mul_i32 s0, s0, s24
	s_add_i32 s1, s2, s1
	s_add_u32 s2, s0, s40
	s_addc_u32 s3, s1, s39
	s_add_u32 s0, s38, 12
	s_addc_u32 s1, s33, 0
	v_cmp_le_u64_e32 vcc, s[0:1], v[1:2]
	v_mul_lo_u16_e32 v1, 12, v4
	v_sub_u16_e32 v9, v0, v1
	v_mov_b32_e32 v2, s33
	v_add_co_u32_e64 v1, s[0:1], s38, v9
	v_addc_co_u32_e64 v2, s[0:1], 0, v2, s[0:1]
	v_cmp_gt_u64_e64 s[0:1], s[20:21], v[1:2]
	s_mov_b32 s20, 0xffff
	s_or_b64 s[0:1], vcc, s[0:1]
	v_lshlrev_b32_e32 v10, 2, v4
	v_add_u32_e32 v8, 13, v4
	v_add_u32_e32 v7, 26, v4
	;; [unrolled: 1-line block ×4, first 2 shown]
	s_and_saveexec_b64 s[4:5], s[0:1]
	s_cbranch_execz .LBB0_14
; %bb.13:
	v_mad_u64_u32 v[1:2], s[6:7], s10, v9, 0
	v_mad_u64_u32 v[11:12], s[6:7], s8, v4, 0
	v_mad_u64_u32 v[2:3], s[6:7], s11, v9, v[2:3]
	v_mov_b32_e32 v3, v12
	v_mad_u64_u32 v[12:13], s[6:7], s9, v4, v[3:4]
	s_lshl_b64 s[6:7], s[2:3], 2
	s_add_u32 s14, s16, s6
	s_addc_u32 s6, s17, s7
	v_mov_b32_e32 v3, s6
	v_mad_u64_u32 v[13:14], s[6:7], s8, v8, 0
	v_lshlrev_b64 v[1:2], 2, v[1:2]
	v_mad_u64_u32 v[15:16], s[6:7], s8, v7, 0
	v_add_co_u32_e32 v37, vcc, s14, v1
	v_addc_co_u32_e32 v38, vcc, v3, v2, vcc
	v_mov_b32_e32 v3, v14
	v_lshlrev_b64 v[1:2], 2, v[11:12]
	v_mad_u64_u32 v[11:12], s[6:7], s9, v8, v[3:4]
	v_mov_b32_e32 v3, v16
	v_mad_u64_u32 v[17:18], s[6:7], s8, v6, 0
	v_mov_b32_e32 v14, v11
	v_lshlrev_b64 v[11:12], 2, v[13:14]
	v_mad_u64_u32 v[13:14], s[6:7], s9, v7, v[3:4]
	v_mov_b32_e32 v3, v18
	v_mad_u64_u32 v[19:20], s[6:7], s8, v5, 0
	v_mov_b32_e32 v16, v13
	v_lshlrev_b64 v[13:14], 2, v[15:16]
	v_mad_u64_u32 v[15:16], s[6:7], s9, v6, v[3:4]
	v_mov_b32_e32 v3, v20
	v_add_u32_e32 v23, 0x41, v4
	v_mov_b32_e32 v18, v15
	v_lshlrev_b64 v[15:16], 2, v[17:18]
	v_mad_u64_u32 v[17:18], s[6:7], s9, v5, v[3:4]
	v_mad_u64_u32 v[21:22], s[6:7], s8, v23, 0
	v_mov_b32_e32 v20, v17
	v_add_u32_e32 v25, 0x4e, v4
	v_mov_b32_e32 v3, v22
	v_lshlrev_b64 v[17:18], 2, v[19:20]
	v_mad_u64_u32 v[19:20], s[6:7], s9, v23, v[3:4]
	;; [unrolled: 6-line block ×5, first 2 shown]
	v_mad_u64_u32 v[29:30], s[6:7], s8, v31, 0
	v_add_co_u32_e32 v1, vcc, v37, v1
	v_addc_co_u32_e32 v2, vcc, v38, v2, vcc
	v_add_co_u32_e32 v11, vcc, v37, v11
	v_mov_b32_e32 v28, v25
	v_mov_b32_e32 v3, v30
	v_add_u32_e32 v33, 0x82, v4
	v_addc_co_u32_e32 v12, vcc, v38, v12, vcc
	v_lshlrev_b64 v[25:26], 2, v[27:28]
	v_mad_u64_u32 v[27:28], s[6:7], s9, v31, v[3:4]
	v_mad_u64_u32 v[31:32], s[6:7], s8, v33, 0
	v_add_co_u32_e32 v13, vcc, v37, v13
	v_addc_co_u32_e32 v14, vcc, v38, v14, vcc
	v_add_co_u32_e32 v15, vcc, v37, v15
	v_addc_co_u32_e32 v16, vcc, v38, v16, vcc
	v_mov_b32_e32 v30, v27
	v_mov_b32_e32 v3, v32
	v_add_u32_e32 v35, 0x8f, v4
	v_add_co_u32_e32 v17, vcc, v37, v17
	v_lshlrev_b64 v[27:28], 2, v[29:30]
	v_mad_u64_u32 v[29:30], s[6:7], s9, v33, v[3:4]
	v_mad_u64_u32 v[33:34], s[6:7], s8, v35, 0
	v_addc_co_u32_e32 v18, vcc, v38, v18, vcc
	v_add_co_u32_e32 v19, vcc, v37, v19
	v_addc_co_u32_e32 v20, vcc, v38, v20, vcc
	v_add_co_u32_e32 v21, vcc, v37, v21
	v_mov_b32_e32 v32, v29
	v_mov_b32_e32 v3, v34
	v_add_u32_e32 v39, 0x9c, v4
	v_addc_co_u32_e32 v22, vcc, v38, v22, vcc
	v_lshlrev_b64 v[29:30], 2, v[31:32]
	v_mad_u64_u32 v[31:32], s[6:7], s9, v35, v[3:4]
	v_mad_u64_u32 v[35:36], s[6:7], s8, v39, 0
	v_add_co_u32_e32 v23, vcc, v37, v23
	v_addc_co_u32_e32 v24, vcc, v38, v24, vcc
	v_add_co_u32_e32 v25, vcc, v37, v25
	v_addc_co_u32_e32 v26, vcc, v38, v26, vcc
	v_mov_b32_e32 v34, v31
	v_mov_b32_e32 v3, v36
	v_add_co_u32_e32 v27, vcc, v37, v27
	v_lshlrev_b64 v[31:32], 2, v[33:34]
	v_mad_u64_u32 v[33:34], s[6:7], s9, v39, v[3:4]
	v_addc_co_u32_e32 v28, vcc, v38, v28, vcc
	v_add_co_u32_e32 v29, vcc, v37, v29
	v_addc_co_u32_e32 v30, vcc, v38, v30, vcc
	global_load_dword v3, v[1:2], off
	global_load_dword v34, v[11:12], off
	v_add_co_u32_e32 v1, vcc, v37, v31
	v_mov_b32_e32 v36, v33
	v_addc_co_u32_e32 v2, vcc, v38, v32, vcc
	global_load_dword v31, v[13:14], off
	global_load_dword v32, v[15:16], off
	v_lshlrev_b64 v[11:12], 2, v[35:36]
	global_load_dword v13, v[17:18], off
	global_load_dword v14, v[19:20], off
	;; [unrolled: 1-line block ×8, first 2 shown]
	v_add_co_u32_e32 v1, vcc, v37, v11
	v_addc_co_u32_e32 v2, vcc, v38, v12, vcc
	global_load_dword v1, v[1:2], off
	v_mul_u32_u24_e32 v2, 0x2a4, v9
	v_add3_u32 v2, 0, v2, v10
	s_waitcnt vmcnt(11)
	ds_write2_b32 v2, v3, v34 offset1:13
	s_waitcnt vmcnt(9)
	ds_write2_b32 v2, v31, v32 offset0:26 offset1:39
	s_waitcnt vmcnt(7)
	ds_write2_b32 v2, v13, v14 offset0:52 offset1:65
	;; [unrolled: 2-line block ×5, first 2 shown]
	s_waitcnt vmcnt(0)
	ds_write_b32 v2, v1 offset:624
.LBB0_14:
	s_or_b64 exec, exec, s[4:5]
	s_movk_i32 s4, 0x13b2
	v_mul_u32_u24_sdwa v1, v0, s4 dst_sel:DWORD dst_unused:UNUSED_PAD src0_sel:WORD_0 src1_sel:DWORD
	s_add_u32 s4, 0, 0x55540000
	s_addc_u32 s5, 0, 0x55
	s_add_i32 s5, s5, 0x15555500
	s_mul_hi_u32 s15, s4, -12
	s_sub_i32 s15, s15, s4
	s_mul_i32 s21, s5, -12
	s_mul_i32 s6, s4, -12
	s_add_i32 s15, s15, s21
	s_mul_hi_u32 s7, s5, s6
	s_mul_i32 s14, s5, s6
	s_mul_i32 s22, s4, s15
	s_mul_hi_u32 s6, s4, s6
	s_mul_hi_u32 s21, s4, s15
	s_add_u32 s6, s6, s22
	s_addc_u32 s21, 0, s21
	s_add_u32 s6, s6, s14
	s_mul_hi_u32 s22, s5, s15
	s_addc_u32 s6, s21, s7
	v_lshrrev_b32_e32 v11, 16, v1
	s_addc_u32 s7, s22, 0
	s_mul_i32 s14, s5, s15
	v_mov_b32_e32 v1, s33
	v_add_co_u32_e32 v12, vcc, s38, v11
	s_add_u32 s6, s6, s14
	v_addc_co_u32_e32 v15, vcc, 0, v1, vcc
	v_mov_b32_e32 v1, s6
	s_addc_u32 s7, 0, s7
	v_add_co_u32_e32 v3, vcc, s4, v1
	s_cmp_lg_u64 vcc, 0
	s_addc_u32 s6, s5, s7
	v_mad_u64_u32 v[1:2], s[4:5], v12, s6, 0
	v_mul_hi_u32 v13, v12, v3
	s_waitcnt lgkmcnt(0)
	s_barrier
	v_add_co_u32_e32 v16, vcc, v13, v1
	v_addc_co_u32_e32 v17, vcc, 0, v2, vcc
	v_mad_u64_u32 v[1:2], s[4:5], v15, v3, 0
	v_mad_u64_u32 v[13:14], s[4:5], v15, s6, 0
	v_add_co_u32_e32 v1, vcc, v16, v1
	v_addc_co_u32_e32 v1, vcc, v17, v2, vcc
	v_addc_co_u32_e32 v2, vcc, 0, v14, vcc
	v_add_co_u32_e32 v1, vcc, v1, v13
	v_addc_co_u32_e32 v3, vcc, 0, v2, vcc
	v_mad_u64_u32 v[1:2], s[4:5], v1, 12, 0
	s_movk_i32 s7, 0x3b15
	s_mov_b32 s27, 0xbbf1
	v_mad_u64_u32 v[2:3], s[4:5], v3, 12, v[2:3]
	v_sub_co_u32_e32 v1, vcc, v12, v1
	v_subb_co_u32_e32 v2, vcc, v15, v2, vcc
	v_subrev_co_u32_e32 v3, vcc, 12, v1
	v_subbrev_co_u32_e32 v13, vcc, 0, v2, vcc
	v_cmp_lt_u32_e32 vcc, 11, v3
	v_cndmask_b32_e64 v14, 0, -1, vcc
	v_cmp_eq_u32_e32 vcc, 0, v13
	v_cndmask_b32_e32 v13, -1, v14, vcc
	v_add_u32_e32 v14, -12, v3
	v_cmp_ne_u32_e32 vcc, 0, v13
	v_cndmask_b32_e32 v3, v3, v14, vcc
	v_cmp_lt_u32_e32 vcc, 11, v1
	v_cndmask_b32_e64 v13, 0, -1, vcc
	v_cmp_eq_u32_e32 vcc, 0, v2
	v_cndmask_b32_e32 v2, -1, v13, vcc
	v_cmp_ne_u32_e32 vcc, 0, v2
	v_cndmask_b32_e32 v1, v1, v3, vcc
	v_mul_lo_u16_e32 v2, 13, v11
	v_mul_u32_u24_e32 v1, 0xa9, v1
	v_sub_u16_e32 v13, v0, v2
	v_lshlrev_b32_e32 v0, 2, v1
	v_lshlrev_b32_e32 v2, 2, v13
	v_add_u32_e32 v1, 0, v0
	v_add3_u32 v11, 0, v2, v0
	v_add_u32_e32 v14, v1, v2
	v_mad_u32_u24 v15, v13, 52, v1
	ds_read2_b32 v[24:25], v11 offset0:39 offset1:52
	ds_read_b32 v16, v14
	ds_read2_b32 v[21:22], v11 offset0:13 offset1:26
	ds_read2_b32 v[0:1], v11 offset0:65 offset1:78
	;; [unrolled: 1-line block ×5, first 2 shown]
	s_waitcnt lgkmcnt(4)
	v_pk_add_f16 v17, v16, v21
	v_pk_add_f16 v17, v17, v22
	;; [unrolled: 1-line block ×4, first 2 shown]
	s_waitcnt lgkmcnt(3)
	v_pk_add_f16 v17, v17, v0
	v_pk_add_f16 v17, v17, v1
	s_waitcnt lgkmcnt(2)
	v_pk_add_f16 v17, v17, v2
	v_pk_add_f16 v17, v17, v3
	;; [unrolled: 3-line block ×4, first 2 shown]
	v_pk_add_f16 v17, v21, v30 neg_lo:[0,1] neg_hi:[0,1]
	s_mov_b32 s4, 0xb770
	v_pk_add_f16 v19, v30, v21
	v_mul_f16_sdwa v20, v17, s4 dst_sel:DWORD dst_unused:UNUSED_PAD src0_sel:WORD_1 src1_sel:DWORD
	v_fma_f16 v21, v19, s7, -v20
	v_fma_f16 v20, v19, s7, v20
	s_mov_b32 s4, 0x3b15388b
	v_add_f16_e32 v26, v16, v20
	v_pk_mul_f16 v20, v19, s4
	s_mov_b32 s4, 0xba95b770
	v_pk_fma_f16 v30, v17, s4, v20 op_sel:[0,0,1] op_sel_hi:[1,1,0] neg_lo:[1,0,0] neg_hi:[1,0,0]
	v_pk_fma_f16 v20, v17, s4, v20 op_sel:[0,0,1] op_sel_hi:[1,1,0]
	v_add_f16_e32 v23, v16, v21
	v_bfi_b32 v21, s20, v20, v30
	v_pk_add_f16 v31, v16, v21 op_sel:[1,0] op_sel_hi:[0,1]
	v_lshrrev_b32_e32 v21, 16, v19
	v_mul_f16_e32 v32, 0xba95, v17
	s_movk_i32 s5, 0x388b
	v_pk_add_f16 v34, v16, v20 op_sel:[1,0] op_sel_hi:[0,1]
	v_fma_f16 v20, v21, s5, -v32
	v_add_f16_sdwa v35, v16, v20 dst_sel:DWORD dst_unused:UNUSED_PAD src0_sel:WORD_1 src1_sel:DWORD
	v_mul_f16_sdwa v20, v17, s27 dst_sel:DWORD dst_unused:UNUSED_PAD src0_sel:WORD_1 src1_sel:DWORD
	s_movk_i32 s4, 0x2fb7
	v_fma_f16 v33, v21, s5, v32
	v_fma_f16 v32, v19, s4, -v20
	v_add_f16_e32 v36, v16, v32
	v_mul_f16_e32 v32, 0xbbf1, v17
	v_fma_f16 v20, v19, s4, v20
	v_add_f16_e32 v38, v16, v20
	v_fma_f16 v20, v21, s4, -v32
	s_mov_b32 s21, 0xbb7b
	v_add_f16_sdwa v39, v16, v20 dst_sel:DWORD dst_unused:UNUSED_PAD src0_sel:WORD_1 src1_sel:DWORD
	v_mul_f16_sdwa v20, v17, s21 dst_sel:DWORD dst_unused:UNUSED_PAD src0_sel:WORD_1 src1_sel:DWORD
	s_mov_b32 s6, 0xb5ac
	v_fma_f16 v37, v21, s4, v32
	v_fma_f16 v32, v19, s6, -v20
	v_add_f16_e32 v40, v16, v32
	v_mul_f16_e32 v32, 0xbb7b, v17
	v_fma_f16 v20, v19, s6, v20
	v_add_f16_e32 v42, v16, v20
	v_fma_f16 v20, v21, s6, -v32
	s_mov_b32 s22, 0xb94e
	v_add_f16_sdwa v43, v16, v20 dst_sel:DWORD dst_unused:UNUSED_PAD src0_sel:WORD_1 src1_sel:DWORD
	v_mul_f16_sdwa v20, v17, s22 dst_sel:DWORD dst_unused:UNUSED_PAD src0_sel:WORD_1 src1_sel:DWORD
	s_mov_b32 s14, 0xb9fd
	v_fma_f16 v41, v21, s6, v32
	v_fma_f16 v32, v19, s14, -v20
	v_add_f16_e32 v44, v16, v32
	v_mul_f16_e32 v32, 0xb94e, v17
	v_fma_f16 v20, v19, s14, v20
	v_add_f16_e32 v46, v16, v20
	v_fma_f16 v20, v21, s14, -v32
	s_mov_b32 s26, 0xba95
	v_add_f16_sdwa v47, v16, v20 dst_sel:DWORD dst_unused:UNUSED_PAD src0_sel:WORD_1 src1_sel:DWORD
	v_pk_add_f16 v20, v22, v29 neg_lo:[0,1] neg_hi:[0,1]
	v_fma_f16 v45, v21, s14, v32
	v_pk_add_f16 v21, v29, v22
	v_mul_f16_sdwa v22, v20, s26 dst_sel:DWORD dst_unused:UNUSED_PAD src0_sel:WORD_1 src1_sel:DWORD
	v_fma_f16 v29, v21, s5, -v22
	v_fma_f16 v22, v21, s5, v22
	s_mov_b32 s15, 0x388bb5ac
	v_add_f16_e32 v26, v22, v26
	v_pk_mul_f16 v22, v21, s15
	s_mov_b32 s15, 0xbb7bba95
	v_pk_fma_f16 v32, v20, s15, v22 op_sel:[0,0,1] op_sel_hi:[1,1,0] neg_lo:[1,0,0] neg_hi:[1,0,0]
	v_pk_fma_f16 v22, v20, s15, v22 op_sel:[0,0,1] op_sel_hi:[1,1,0]
	v_add_f16_e32 v29, v29, v23
	v_bfi_b32 v23, s20, v22, v32
	v_pk_add_f16 v31, v23, v31
	v_lshrrev_b32_e32 v23, 16, v21
	v_mul_f16_e32 v48, 0xbb7b, v20
	v_pk_add_f16 v34, v22, v34
	v_fma_f16 v22, v23, s6, -v48
	s_mov_b32 s23, 0xb3a8
	v_fma_f16 v49, v23, s6, v48
	v_add_f16_e32 v48, v22, v35
	v_mul_f16_sdwa v22, v20, s23 dst_sel:DWORD dst_unused:UNUSED_PAD src0_sel:WORD_1 src1_sel:DWORD
	s_mov_b32 s15, 0xbbc4
	v_fma_f16 v35, v21, s15, -v22
	v_add_f16_e32 v36, v35, v36
	v_mul_f16_e32 v35, 0xb3a8, v20
	v_fma_f16 v22, v21, s15, v22
	v_add_f16_e32 v38, v22, v38
	v_fma_f16 v22, v23, s15, -v35
	s_movk_i32 s24, 0x394e
	v_add_f16_sdwa v33, v16, v33 dst_sel:DWORD dst_unused:UNUSED_PAD src0_sel:WORD_1 src1_sel:DWORD
	v_add_f16_e32 v39, v22, v39
	v_mul_f16_sdwa v22, v20, s24 dst_sel:DWORD dst_unused:UNUSED_PAD src0_sel:WORD_1 src1_sel:DWORD
	v_add_f16_e32 v33, v49, v33
	v_fma_f16 v49, v23, s15, v35
	v_fma_f16 v35, v21, s14, -v22
	v_add_f16_e32 v40, v35, v40
	v_mul_f16_e32 v35, 0x394e, v20
	v_fma_f16 v22, v21, s14, v22
	v_add_f16_e32 v42, v22, v42
	v_fma_f16 v22, v23, s14, -v35
	s_movk_i32 s24, 0x3bf1
	v_add_f16_sdwa v37, v16, v37 dst_sel:DWORD dst_unused:UNUSED_PAD src0_sel:WORD_1 src1_sel:DWORD
	v_add_f16_e32 v43, v22, v43
	v_mul_f16_sdwa v22, v20, s24 dst_sel:DWORD dst_unused:UNUSED_PAD src0_sel:WORD_1 src1_sel:DWORD
	v_add_f16_e32 v37, v49, v37
	v_fma_f16 v49, v23, s14, v35
	v_fma_f16 v35, v21, s4, -v22
	v_add_f16_e32 v44, v35, v44
	v_mul_f16_e32 v35, 0x3bf1, v20
	v_fma_f16 v22, v21, s4, v22
	v_add_f16_e32 v46, v22, v46
	v_fma_f16 v22, v23, s4, -v35
	v_add_f16_sdwa v41, v16, v41 dst_sel:DWORD dst_unused:UNUSED_PAD src0_sel:WORD_1 src1_sel:DWORD
	v_add_f16_e32 v47, v22, v47
	v_pk_add_f16 v22, v24, v28 neg_lo:[0,1] neg_hi:[0,1]
	v_add_f16_e32 v41, v49, v41
	v_fma_f16 v49, v23, s4, v35
	v_pk_add_f16 v23, v28, v24
	v_mul_f16_sdwa v24, v22, s27 dst_sel:DWORD dst_unused:UNUSED_PAD src0_sel:WORD_1 src1_sel:DWORD
	v_fma_f16 v28, v23, s4, -v24
	v_fma_f16 v24, v23, s4, v24
	s_mov_b32 s25, 0x2fb7bbc4
	v_add_f16_e32 v24, v24, v26
	v_pk_mul_f16 v26, v23, s25
	s_mov_b32 s25, 0xb3a8bbf1
	v_pk_fma_f16 v35, v22, s25, v26 op_sel:[0,0,1] op_sel_hi:[1,1,0] neg_lo:[1,0,0] neg_hi:[1,0,0]
	v_pk_fma_f16 v26, v22, s25, v26 op_sel:[0,0,1] op_sel_hi:[1,1,0]
	v_add_f16_sdwa v45, v16, v45 dst_sel:DWORD dst_unused:UNUSED_PAD src0_sel:WORD_1 src1_sel:DWORD
	v_add_f16_e32 v28, v28, v29
	v_bfi_b32 v29, s20, v26, v35
	v_add_f16_e32 v45, v49, v45
	v_pk_add_f16 v29, v29, v31
	v_lshrrev_b32_e32 v31, 16, v23
	v_mul_f16_e32 v49, 0xb3a8, v22
	v_pk_add_f16 v34, v26, v34
	v_fma_f16 v26, v31, s15, -v49
	s_movk_i32 s25, 0x3b7b
	v_add_f16_e32 v48, v26, v48
	v_mul_f16_sdwa v26, v22, s25 dst_sel:DWORD dst_unused:UNUSED_PAD src0_sel:WORD_1 src1_sel:DWORD
	v_fma_f16 v50, v31, s15, v49
	v_fma_f16 v49, v23, s6, -v26
	v_add_f16_e32 v36, v49, v36
	v_mul_f16_e32 v49, 0x3b7b, v22
	v_fma_f16 v26, v23, s6, v26
	v_add_f16_e32 v38, v26, v38
	v_fma_f16 v26, v31, s6, -v49
	s_movk_i32 s25, 0x3770
	v_add_f16_e32 v39, v26, v39
	v_mul_f16_sdwa v26, v22, s25 dst_sel:DWORD dst_unused:UNUSED_PAD src0_sel:WORD_1 src1_sel:DWORD
	v_add_f16_e32 v33, v50, v33
	v_fma_f16 v50, v31, s6, v49
	v_fma_f16 v49, v23, s7, -v26
	v_add_f16_e32 v40, v49, v40
	v_mul_f16_e32 v49, 0x3770, v22
	v_fma_f16 v26, v23, s7, v26
	v_add_f16_e32 v42, v26, v42
	v_fma_f16 v26, v31, s7, -v49
	v_add_f16_e32 v43, v26, v43
	v_mul_f16_sdwa v26, v22, s26 dst_sel:DWORD dst_unused:UNUSED_PAD src0_sel:WORD_1 src1_sel:DWORD
	v_add_f16_e32 v37, v50, v37
	v_fma_f16 v50, v31, s7, v49
	v_fma_f16 v49, v23, s5, -v26
	v_add_f16_e32 v44, v49, v44
	v_mul_f16_e32 v49, 0xba95, v22
	v_fma_f16 v26, v23, s5, v26
	v_add_f16_e32 v46, v26, v46
	v_fma_f16 v26, v31, s5, -v49
	v_add_f16_e32 v41, v50, v41
	v_fma_f16 v50, v31, s5, v49
	v_add_f16_e32 v31, v26, v47
	v_pk_add_f16 v26, v27, v25
	v_pk_add_f16 v25, v25, v27 neg_lo:[0,1] neg_hi:[0,1]
	v_mul_f16_sdwa v27, v25, s21 dst_sel:DWORD dst_unused:UNUSED_PAD src0_sel:WORD_1 src1_sel:DWORD
	v_fma_f16 v47, v26, s6, -v27
	v_fma_f16 v27, v26, s6, v27
	s_mov_b32 s28, 0xb5acb9fd
	v_add_f16_e32 v49, v27, v24
	v_pk_mul_f16 v24, v26, s28
	s_mov_b32 s28, 0x394ebb7b
	v_add_f16_e32 v45, v50, v45
	v_pk_fma_f16 v50, v25, s28, v24 op_sel:[0,0,1] op_sel_hi:[1,1,0] neg_lo:[1,0,0] neg_hi:[1,0,0]
	v_pk_fma_f16 v24, v25, s28, v24 op_sel:[0,0,1] op_sel_hi:[1,1,0]
	v_bfi_b32 v27, s20, v24, v50
	v_add_f16_e32 v47, v47, v28
	v_pk_add_f16 v29, v27, v29
	v_lshrrev_b32_e32 v28, 16, v26
	v_mul_f16_e32 v27, 0x394e, v25
	v_fma_f16 v51, v28, s14, v27
	v_fma_f16 v27, v28, s14, -v27
	v_pk_add_f16 v24, v24, v34
	v_add_f16_e32 v34, v27, v48
	v_mul_f16_sdwa v27, v25, s25 dst_sel:DWORD dst_unused:UNUSED_PAD src0_sel:WORD_1 src1_sel:DWORD
	v_fma_f16 v48, v26, s7, -v27
	v_add_f16_e32 v36, v48, v36
	v_mul_f16_e32 v48, 0x3770, v25
	v_fma_f16 v27, v26, s7, v27
	v_add_f16_e32 v38, v27, v38
	v_fma_f16 v27, v28, s7, -v48
	v_add_f16_e32 v27, v27, v39
	v_mul_f16_sdwa v39, v25, s27 dst_sel:DWORD dst_unused:UNUSED_PAD src0_sel:WORD_1 src1_sel:DWORD
	v_add_f16_e32 v33, v51, v33
	v_fma_f16 v51, v28, s7, v48
	v_fma_f16 v48, v26, s4, -v39
	v_add_f16_e32 v40, v48, v40
	v_mul_f16_e32 v48, 0xbbf1, v25
	v_fma_f16 v39, v26, s4, v39
	v_add_f16_e32 v39, v39, v42
	v_fma_f16 v42, v28, s4, -v48
	s_movk_i32 s27, 0x33a8
	v_add_f16_e32 v42, v42, v43
	v_mul_f16_sdwa v43, v25, s27 dst_sel:DWORD dst_unused:UNUSED_PAD src0_sel:WORD_1 src1_sel:DWORD
	v_add_f16_e32 v37, v51, v37
	v_fma_f16 v51, v28, s4, v48
	v_fma_f16 v48, v26, s15, -v43
	v_add_f16_e32 v44, v48, v44
	v_mul_f16_e32 v48, 0x33a8, v25
	v_add_f16_e32 v41, v51, v41
	v_fma_f16 v51, v28, s15, v48
	v_fma_f16 v28, v28, s15, -v48
	v_add_f16_e32 v31, v28, v31
	v_pk_add_f16 v28, v3, v0
	v_pk_add_f16 v3, v0, v3 neg_lo:[0,1] neg_hi:[0,1]
	v_fma_f16 v43, v26, s15, v43
	v_mul_f16_sdwa v0, v3, s22 dst_sel:DWORD dst_unused:UNUSED_PAD src0_sel:WORD_1 src1_sel:DWORD
	v_add_f16_e32 v43, v43, v46
	v_fma_f16 v46, v28, s14, -v0
	v_fma_f16 v0, v28, s14, v0
	s_mov_b32 s28, 0xb9fd2fb7
	v_add_f16_e32 v46, v46, v47
	v_add_f16_e32 v47, v0, v49
	v_pk_mul_f16 v0, v28, s28
	s_mov_b32 s28, 0x3bf1b94e
	v_pk_fma_f16 v48, v3, s28, v0 op_sel:[0,0,1] op_sel_hi:[1,1,0] neg_lo:[1,0,0] neg_hi:[1,0,0]
	v_pk_fma_f16 v0, v3, s28, v0 op_sel:[0,0,1] op_sel_hi:[1,1,0]
	v_bfi_b32 v49, s20, v0, v48
	v_add_f16_e32 v45, v51, v45
	v_pk_add_f16 v49, v49, v29
	v_lshrrev_b32_e32 v51, 16, v28
	v_mul_f16_e32 v29, 0x3bf1, v3
	v_fma_f16 v52, v51, s4, v29
	v_fma_f16 v29, v51, s4, -v29
	v_add_f16_e32 v53, v29, v34
	v_mul_f16_sdwa v29, v3, s26 dst_sel:DWORD dst_unused:UNUSED_PAD src0_sel:WORD_1 src1_sel:DWORD
	v_add_f16_e32 v52, v52, v33
	v_fma_f16 v33, v28, s5, -v29
	v_add_f16_e32 v36, v33, v36
	v_mul_f16_e32 v33, 0xba95, v3
	v_fma_f16 v29, v28, s5, v29
	v_fma_f16 v34, v51, s5, v33
	v_add_f16_e32 v38, v29, v38
	v_fma_f16 v29, v51, s5, -v33
	v_mul_f16_sdwa v33, v3, s27 dst_sel:DWORD dst_unused:UNUSED_PAD src0_sel:WORD_1 src1_sel:DWORD
	v_add_f16_e32 v54, v34, v37
	v_fma_f16 v34, v28, s15, -v33
	v_add_f16_e32 v40, v34, v40
	v_mul_f16_e32 v34, 0x33a8, v3
	v_fma_f16 v33, v28, s15, v33
	v_add_f16_e32 v39, v33, v39
	v_fma_f16 v33, v51, s15, -v34
	v_add_f16_e32 v42, v33, v42
	v_mul_f16_sdwa v33, v3, s25 dst_sel:DWORD dst_unused:UNUSED_PAD src0_sel:WORD_1 src1_sel:DWORD
	v_fma_f16 v37, v51, s15, v34
	v_fma_f16 v34, v28, s7, -v33
	v_add_f16_e32 v44, v34, v44
	v_mul_f16_e32 v34, 0x3770, v3
	v_fma_f16 v33, v28, s7, v33
	v_add_f16_e32 v55, v33, v43
	v_fma_f16 v33, v51, s7, -v34
	v_add_f16_e32 v41, v37, v41
	v_fma_f16 v37, v51, s7, v34
	v_add_f16_e32 v51, v33, v31
	v_pk_add_f16 v31, v2, v1
	v_pk_add_f16 v1, v1, v2 neg_lo:[0,1] neg_hi:[0,1]
	v_mul_f16_sdwa v2, v1, s23 dst_sel:DWORD dst_unused:UNUSED_PAD src0_sel:WORD_1 src1_sel:DWORD
	v_fma_f16 v33, v31, s15, -v2
	s_mov_b32 s26, 0xbbc43b15
	v_add_f16_sdwa v30, v16, v30 dst_sel:DWORD dst_unused:UNUSED_PAD src0_sel:WORD_1 src1_sel:DWORD
	v_add_f16_e32 v46, v33, v46
	v_pk_mul_f16 v33, v31, s26
	s_mov_b32 s26, 0x3770b3a8
	v_add_f16_e32 v30, v32, v30
	v_add_f16_e32 v45, v37, v45
	v_pk_fma_f16 v37, v1, s26, v33 op_sel:[0,0,1] op_sel_hi:[1,1,0] neg_lo:[1,0,0] neg_hi:[1,0,0]
	v_add_f16_e32 v30, v35, v30
	v_pk_fma_f16 v32, v1, s26, v33 op_sel:[0,0,1] op_sel_hi:[1,1,0]
	v_fma_f16 v2, v31, s15, v2
	v_add_f16_e32 v30, v50, v30
	v_bfi_b32 v32, s20, v32, v37
	v_add_f16_e32 v2, v2, v47
	v_add_f16_e32 v30, v48, v30
	v_pk_add_f16 v47, v32, v49
	v_lshrrev_b32_e32 v48, 16, v31
	v_mul_f16_e32 v32, 0x3770, v1
	v_fma_f16 v35, v48, s7, v32
	v_mul_f16_sdwa v43, v1, s22 dst_sel:DWORD dst_unused:UNUSED_PAD src0_sel:WORD_1 src1_sel:DWORD
	v_add_f16_e32 v49, v35, v52
	v_fma_f16 v35, v31, s14, -v43
	v_add_f16_e32 v50, v35, v36
	v_mul_f16_e32 v35, 0xb9fd, v48
	v_fma_f16 v36, v1, s22, v35
	v_pk_mul_f16 v34, v1, s26
	v_add_f16_e32 v52, v36, v54
	v_fma_f16 v36, v31, s14, v43
	s_movk_i32 s26, 0x3a95
	v_add_f16_e32 v36, v36, v38
	v_mul_f16_sdwa v38, v1, s26 dst_sel:DWORD dst_unused:UNUSED_PAD src0_sel:WORD_1 src1_sel:DWORD
	v_fma_f16 v32, v48, s7, -v32
	v_fma_f16 v43, v31, s5, -v38
	v_add_f16_e32 v32, v32, v53
	v_add_f16_e32 v53, v43, v40
	v_mul_f16_e32 v40, 0x3a95, v1
	v_fma_f16 v38, v31, s5, v38
	v_fma_f16 v43, v48, s5, v40
	v_add_f16_e32 v38, v38, v39
	v_fma_f16 v39, v48, s5, -v40
	v_mul_f16_sdwa v40, v1, s21 dst_sel:DWORD dst_unused:UNUSED_PAD src0_sel:WORD_1 src1_sel:DWORD
	v_add_f16_e32 v54, v43, v41
	v_fma_f16 v41, v31, s6, -v40
	v_add_f16_e32 v39, v39, v42
	v_add_f16_e32 v42, v41, v44
	v_mul_f16_e32 v41, 0xbb7b, v1
	v_fma_f16 v43, v48, s6, v41
	v_add_f16_e32 v43, v43, v45
	v_pack_b32_f16 v42, v42, v43
	s_barrier
	ds_write2_b32 v15, v18, v42 offset1:5
	v_pk_mul_f16 v18, v19, s15 op_sel_hi:[1,0]
	v_pk_fma_f16 v19, v17, s23, v18 op_sel:[0,0,1] op_sel_hi:[1,0,0] neg_lo:[1,0,0] neg_hi:[1,0,0]
	v_pk_fma_f16 v17, v17, s23, v18 op_sel:[0,0,1] op_sel_hi:[1,0,0]
	v_pk_add_f16 v19, v16, v19 op_sel:[1,0] op_sel_hi:[0,1]
	v_pk_add_f16 v16, v16, v17 op_sel:[1,0] op_sel_hi:[0,1]
	v_pk_mul_f16 v17, v21, s7 op_sel_hi:[1,0]
	v_pk_fma_f16 v18, v20, s25, v17 op_sel:[0,0,1] op_sel_hi:[1,0,0] neg_lo:[1,0,0] neg_hi:[1,0,0]
	v_pk_fma_f16 v17, v20, s25, v17 op_sel:[0,0,1] op_sel_hi:[1,0,0]
	v_pk_add_f16 v16, v17, v16
	v_pk_mul_f16 v17, v23, s14 op_sel_hi:[1,0]
	v_pk_add_f16 v18, v18, v19
	v_pk_fma_f16 v19, v22, s22, v17 op_sel:[0,0,1] op_sel_hi:[1,0,0] neg_lo:[1,0,0] neg_hi:[1,0,0]
	v_pk_fma_f16 v17, v22, s22, v17 op_sel:[0,0,1] op_sel_hi:[1,0,0]
	v_pk_add_f16 v16, v17, v16
	v_pk_mul_f16 v17, v26, s5 op_sel_hi:[1,0]
	v_pk_add_f16 v18, v19, v18
	;; [unrolled: 5-line block ×3, first 2 shown]
	v_pk_fma_f16 v19, v3, s21, v17 op_sel:[0,0,1] op_sel_hi:[1,0,0] neg_lo:[1,0,0] neg_hi:[1,0,0]
	v_pk_fma_f16 v3, v3, s21, v17 op_sel:[0,0,1] op_sel_hi:[1,0,0]
	v_pk_add_f16 v3, v3, v16
	v_pk_mul_f16 v16, v31, s4 op_sel_hi:[1,0]
	v_add_f16_e32 v30, v37, v30
	v_mul_f16_e32 v37, 0xb94e, v1
	v_pk_add_f16 v18, v19, v18
	v_pk_fma_f16 v17, v1, s24, v16 op_sel:[0,0,1] op_sel_hi:[1,0,0] neg_lo:[1,0,0] neg_hi:[1,0,0]
	v_pk_fma_f16 v1, v1, s24, v16 op_sel:[0,0,1] op_sel_hi:[1,0,0]
	v_fma_f16 v40, v31, s6, v40
	v_fma_f16 v41, v48, s6, -v41
	v_pk_add_f16 v17, v17, v18
	v_pk_add_f16 v1, v1, v3
	v_add_f16_e32 v40, v40, v55
	v_add_f16_e32 v41, v41, v51
	v_alignbit_b32 v3, v17, v1, 16
	v_alignbit_b32 v1, v1, v17, 16
	ds_write2_b32 v15, v1, v3 offset0:6 offset1:7
	v_pack_b32_f16 v1, v38, v39
	v_pack_b32_f16 v3, v40, v41
	ds_write2_b32 v15, v3, v1 offset0:8 offset1:9
	v_pack_b32_f16 v1, v29, v33
	v_bfi_b32 v3, s20, v27, v34
	v_pk_add_f16 v1, v1, v3
	v_bfi_b32 v3, s20, v37, v24
	v_pk_add_f16 v3, v35, v3 neg_lo:[0,1] neg_hi:[0,1]
	v_pk_add_f16 v0, v0, v24
	v_bfi_b32 v0, s20, v3, v0
	v_pk_add_f16 v0, v0, v1
	v_alignbit_b32 v1, v32, v0, 16
	v_pack_b32_f16 v0, v36, v0
	ds_write2_b32 v15, v0, v1 offset0:10 offset1:11
	v_pack_b32_f16 v0, v2, v30
	v_alignbit_b32 v44, v49, v47, 16
	v_pack_b32_f16 v45, v46, v47
	ds_write_b32 v15, v0 offset:48
	v_mul_u32_u24_e32 v0, 12, v13
	ds_write2_b32 v15, v45, v44 offset0:1 offset1:2
	v_pack_b32_f16 v44, v53, v54
	v_pack_b32_f16 v45, v50, v52
	v_lshlrev_b32_e32 v23, 2, v0
	ds_write2_b32 v15, v45, v44 offset0:3 offset1:4
	s_waitcnt lgkmcnt(0)
	s_barrier
	global_load_dwordx4 v[0:3], v23, s[18:19]
	global_load_dwordx4 v[15:18], v23, s[18:19] offset:16
	global_load_dwordx4 v[19:22], v23, s[18:19] offset:32
	ds_read2_b32 v[23:24], v11 offset0:13 offset1:26
	ds_read2_b32 v[25:26], v11 offset0:65 offset1:78
	;; [unrolled: 1-line block ×3, first 2 shown]
	ds_read_b32 v35, v14
	ds_read_u16 v14, v11 offset:210
	ds_read2_b32 v[29:30], v11 offset0:91 offset1:104
	s_waitcnt lgkmcnt(5)
	v_lshrrev_b32_e32 v44, 16, v23
	s_waitcnt lgkmcnt(4)
	v_lshrrev_b32_e32 v36, 16, v25
	v_lshrrev_b32_e32 v37, 16, v26
	ds_read2_b32 v[31:32], v11 offset0:117 offset1:130
	s_waitcnt lgkmcnt(1)
	v_lshrrev_b32_e32 v38, 16, v29
	v_lshrrev_b32_e32 v39, 16, v30
	ds_read2_b32 v[33:34], v11 offset0:143 offset1:156
	s_waitcnt lgkmcnt(1)
	v_lshrrev_b32_e32 v40, 16, v31
	v_lshrrev_b32_e32 v41, 16, v32
	s_waitcnt lgkmcnt(0)
	v_lshrrev_b32_e32 v42, 16, v33
	v_lshrrev_b32_e32 v43, 16, v34
	s_waitcnt vmcnt(2)
	v_mul_f16_sdwa v45, v0, v44 dst_sel:DWORD dst_unused:UNUSED_PAD src0_sel:WORD_1 src1_sel:DWORD
	v_fma_f16 v45, v0, v23, -v45
	v_mul_f16_sdwa v23, v0, v23 dst_sel:DWORD dst_unused:UNUSED_PAD src0_sel:WORD_1 src1_sel:DWORD
	v_fma_f16 v23, v0, v44, v23
	v_lshrrev_b32_e32 v0, 16, v24
	v_mul_f16_sdwa v44, v1, v0 dst_sel:DWORD dst_unused:UNUSED_PAD src0_sel:WORD_1 src1_sel:DWORD
	v_fma_f16 v44, v1, v24, -v44
	v_mul_f16_sdwa v24, v1, v24 dst_sel:DWORD dst_unused:UNUSED_PAD src0_sel:WORD_1 src1_sel:DWORD
	v_fma_f16 v24, v1, v0, v24
	v_lshrrev_b32_e32 v0, 16, v27
	v_mul_f16_sdwa v1, v2, v0 dst_sel:DWORD dst_unused:UNUSED_PAD src0_sel:WORD_1 src1_sel:DWORD
	v_fma_f16 v46, v2, v27, -v1
	v_mul_f16_sdwa v1, v2, v27 dst_sel:DWORD dst_unused:UNUSED_PAD src0_sel:WORD_1 src1_sel:DWORD
	v_fma_f16 v27, v2, v0, v1
	v_mul_f16_sdwa v0, v14, v3 dst_sel:DWORD dst_unused:UNUSED_PAD src0_sel:DWORD src1_sel:WORD_1
	v_fma_f16 v47, v3, v28, -v0
	v_mul_f16_sdwa v0, v3, v28 dst_sel:DWORD dst_unused:UNUSED_PAD src0_sel:WORD_1 src1_sel:DWORD
	v_fma_f16 v28, v14, v3, v0
	s_waitcnt vmcnt(1)
	v_mul_f16_sdwa v0, v36, v15 dst_sel:DWORD dst_unused:UNUSED_PAD src0_sel:DWORD src1_sel:WORD_1
	v_fma_f16 v48, v25, v15, -v0
	v_mul_f16_sdwa v0, v25, v15 dst_sel:DWORD dst_unused:UNUSED_PAD src0_sel:DWORD src1_sel:WORD_1
	v_fma_f16 v25, v36, v15, v0
	v_mul_f16_sdwa v0, v37, v16 dst_sel:DWORD dst_unused:UNUSED_PAD src0_sel:DWORD src1_sel:WORD_1
	v_fma_f16 v2, v26, v16, -v0
	v_mul_f16_sdwa v0, v26, v16 dst_sel:DWORD dst_unused:UNUSED_PAD src0_sel:DWORD src1_sel:WORD_1
	v_fma_f16 v3, v37, v16, v0
	v_mul_f16_sdwa v0, v38, v17 dst_sel:DWORD dst_unused:UNUSED_PAD src0_sel:DWORD src1_sel:WORD_1
	v_fma_f16 v14, v29, v17, -v0
	v_mul_f16_sdwa v0, v29, v17 dst_sel:DWORD dst_unused:UNUSED_PAD src0_sel:DWORD src1_sel:WORD_1
	v_fma_f16 v15, v38, v17, v0
	v_mul_f16_sdwa v0, v39, v18 dst_sel:DWORD dst_unused:UNUSED_PAD src0_sel:DWORD src1_sel:WORD_1
	v_fma_f16 v16, v30, v18, -v0
	v_mul_f16_sdwa v0, v30, v18 dst_sel:DWORD dst_unused:UNUSED_PAD src0_sel:DWORD src1_sel:WORD_1
	v_fma_f16 v17, v39, v18, v0
	s_waitcnt vmcnt(0)
	v_mul_f16_sdwa v0, v40, v19 dst_sel:DWORD dst_unused:UNUSED_PAD src0_sel:DWORD src1_sel:WORD_1
	v_fma_f16 v18, v31, v19, -v0
	v_mul_f16_sdwa v0, v31, v19 dst_sel:DWORD dst_unused:UNUSED_PAD src0_sel:DWORD src1_sel:WORD_1
	v_fma_f16 v19, v40, v19, v0
	v_mul_f16_sdwa v0, v41, v20 dst_sel:DWORD dst_unused:UNUSED_PAD src0_sel:DWORD src1_sel:WORD_1
	v_fma_f16 v26, v32, v20, -v0
	v_mul_f16_sdwa v0, v32, v20 dst_sel:DWORD dst_unused:UNUSED_PAD src0_sel:DWORD src1_sel:WORD_1
	v_fma_f16 v20, v41, v20, v0
	;; [unrolled: 4-line block ×4, first 2 shown]
	v_add_f16_e32 v0, v45, v35
	v_add_f16_sdwa v1, v23, v35 dst_sel:DWORD dst_unused:UNUSED_PAD src0_sel:DWORD src1_sel:WORD_1
	v_add_f16_e32 v0, v0, v44
	v_add_f16_e32 v1, v1, v24
	;; [unrolled: 1-line block ×22, first 2 shown]
	v_sub_f16_e32 v30, v45, v30
	v_add_f16_e32 v1, v1, v22
	v_add_f16_e32 v32, v23, v22
	v_sub_f16_e32 v22, v23, v22
	v_mul_f16_e32 v34, 0xb770, v30
	v_mul_f16_e32 v39, 0xba95, v30
	;; [unrolled: 1-line block ×7, first 2 shown]
	v_fma_f16 v36, v32, s7, v34
	v_fma_f16 v34, v32, s7, -v34
	v_mul_f16_e32 v37, 0xba95, v22
	v_fma_f16 v40, v32, s5, v39
	v_fma_f16 v39, v32, s5, -v39
	v_mul_f16_e32 v41, 0xbbf1, v22
	;; [unrolled: 3-line block ×5, first 2 shown]
	v_fma_f16 v58, v32, s15, v30
	v_fma_f16 v30, v32, s15, -v30
	v_add_f16_e32 v32, v24, v21
	v_sub_f16_e32 v21, v24, v21
	v_fma_f16 v33, v31, s7, -v23
	v_fma_f16 v23, v31, s7, v23
	v_fma_f16 v38, v31, s5, -v37
	v_fma_f16 v37, v31, s5, v37
	;; [unrolled: 2-line block ×6, first 2 shown]
	v_add_f16_e32 v31, v44, v29
	v_mul_f16_e32 v24, 0xba95, v21
	v_add_f16_e32 v33, v33, v35
	v_add_f16_sdwa v36, v36, v35 dst_sel:DWORD dst_unused:UNUSED_PAD src0_sel:DWORD src1_sel:WORD_1
	v_add_f16_e32 v23, v23, v35
	v_add_f16_sdwa v34, v34, v35 dst_sel:DWORD dst_unused:UNUSED_PAD src0_sel:DWORD src1_sel:WORD_1
	;; [unrolled: 2-line block ×12, first 2 shown]
	v_sub_f16_e32 v29, v44, v29
	v_fma_f16 v35, v31, s5, -v24
	v_add_f16_e32 v33, v35, v33
	v_mul_f16_e32 v35, 0xba95, v29
	v_fma_f16 v24, v31, s5, v24
	v_add_f16_e32 v23, v24, v23
	v_fma_f16 v24, v32, s5, -v35
	v_add_f16_e32 v24, v24, v34
	v_mul_f16_e32 v34, 0xbb7b, v21
	v_fma_f16 v44, v32, s5, v35
	v_fma_f16 v35, v31, s6, -v34
	v_add_f16_e32 v35, v35, v38
	v_mul_f16_e32 v38, 0xbb7b, v29
	v_fma_f16 v34, v31, s6, v34
	v_add_f16_e32 v36, v44, v36
	v_fma_f16 v44, v32, s6, v38
	v_add_f16_e32 v34, v34, v37
	v_fma_f16 v37, v32, s6, -v38
	v_mul_f16_e32 v38, 0xb3a8, v21
	v_add_f16_e32 v37, v37, v39
	v_fma_f16 v39, v31, s15, -v38
	v_add_f16_e32 v39, v39, v42
	v_mul_f16_e32 v42, 0xb3a8, v29
	v_fma_f16 v38, v31, s15, v38
	v_add_f16_e32 v40, v44, v40
	v_fma_f16 v44, v32, s15, v42
	v_add_f16_e32 v38, v38, v41
	v_fma_f16 v41, v32, s15, -v42
	v_mul_f16_e32 v42, 0x394e, v21
	v_add_f16_e32 v44, v44, v45
	v_add_f16_e32 v41, v41, v43
	v_fma_f16 v43, v31, s14, -v42
	v_mul_f16_e32 v45, 0x394e, v29
	v_fma_f16 v42, v31, s14, v42
	v_add_f16_e32 v43, v43, v50
	v_fma_f16 v50, v32, s14, v45
	v_add_f16_e32 v42, v42, v49
	v_fma_f16 v45, v32, s14, -v45
	v_mul_f16_e32 v49, 0x3bf1, v21
	v_add_f16_e32 v45, v45, v51
	v_fma_f16 v51, v31, s4, -v49
	v_fma_f16 v49, v31, s4, v49
	v_mul_f16_e32 v21, 0x3770, v21
	v_add_f16_e32 v50, v50, v52
	v_mul_f16_e32 v52, 0x3bf1, v29
	v_add_f16_e32 v49, v49, v53
	v_fma_f16 v53, v31, s7, -v21
	v_mul_f16_e32 v29, 0x3770, v29
	v_fma_f16 v21, v31, s7, v21
	v_add_f16_e32 v21, v21, v22
	v_fma_f16 v22, v32, s7, -v29
	v_add_f16_e32 v51, v51, v54
	v_fma_f16 v54, v32, s4, v52
	v_fma_f16 v52, v32, s4, -v52
	v_add_f16_e32 v22, v22, v30
	v_add_f16_e32 v30, v27, v20
	v_sub_f16_e32 v20, v27, v20
	v_add_f16_e32 v52, v52, v55
	v_fma_f16 v55, v32, s7, v29
	v_add_f16_e32 v29, v46, v26
	v_sub_f16_e32 v26, v46, v26
	v_mul_f16_e32 v27, 0xbbf1, v20
	v_fma_f16 v31, v29, s4, -v27
	v_mul_f16_e32 v32, 0xbbf1, v26
	v_fma_f16 v27, v29, s4, v27
	v_add_f16_e32 v23, v27, v23
	v_fma_f16 v27, v30, s4, -v32
	v_add_f16_e32 v24, v27, v24
	v_mul_f16_e32 v27, 0xb3a8, v20
	v_add_f16_e32 v31, v31, v33
	v_fma_f16 v33, v30, s4, v32
	v_fma_f16 v32, v29, s15, -v27
	v_add_f16_e32 v32, v32, v35
	v_mul_f16_e32 v35, 0xb3a8, v26
	v_fma_f16 v27, v29, s15, v27
	v_add_f16_e32 v33, v33, v36
	v_fma_f16 v36, v30, s15, v35
	v_add_f16_e32 v27, v27, v34
	v_fma_f16 v34, v30, s15, -v35
	v_mul_f16_e32 v35, 0x3b7b, v20
	v_add_f16_e32 v34, v34, v37
	v_fma_f16 v37, v29, s6, -v35
	v_add_f16_e32 v37, v37, v39
	v_mul_f16_e32 v39, 0x3b7b, v26
	v_fma_f16 v35, v29, s6, v35
	v_add_f16_e32 v36, v36, v40
	v_fma_f16 v40, v30, s6, v39
	v_add_f16_e32 v35, v35, v38
	v_fma_f16 v38, v30, s6, -v39
	v_mul_f16_e32 v39, 0x3770, v20
	v_add_f16_e32 v38, v38, v41
	;; [unrolled: 10-line block ×3, first 2 shown]
	v_fma_f16 v45, v29, s5, -v43
	v_fma_f16 v43, v29, s5, v43
	v_mul_f16_e32 v20, 0xb94e, v20
	v_mul_f16_e32 v46, 0xba95, v26
	v_add_f16_e32 v43, v43, v49
	v_fma_f16 v49, v29, s14, -v20
	v_mul_f16_e32 v26, 0xb94e, v26
	v_fma_f16 v20, v29, s14, v20
	v_add_f16_e32 v45, v45, v51
	v_fma_f16 v51, v30, s14, v26
	v_add_f16_e32 v20, v20, v21
	v_fma_f16 v21, v30, s14, -v26
	v_add_f16_e32 v26, v28, v19
	v_sub_f16_e32 v19, v28, v19
	v_add_f16_e32 v21, v21, v22
	v_add_f16_e32 v22, v47, v18
	v_sub_f16_e32 v18, v47, v18
	v_mul_f16_e32 v28, 0xbb7b, v19
	v_add_f16_e32 v44, v44, v50
	v_fma_f16 v50, v30, s5, v46
	v_fma_f16 v46, v30, s5, -v46
	v_fma_f16 v29, v22, s6, -v28
	v_mul_f16_e32 v30, 0xbb7b, v18
	v_fma_f16 v28, v22, s6, v28
	v_add_f16_e32 v23, v28, v23
	v_fma_f16 v28, v26, s6, -v30
	v_add_f16_e32 v29, v29, v31
	v_fma_f16 v31, v26, s6, v30
	v_add_f16_e32 v24, v28, v24
	v_mul_f16_e32 v28, 0x394e, v19
	v_add_f16_e32 v33, v31, v33
	v_fma_f16 v30, v22, s14, -v28
	v_mul_f16_e32 v31, 0x394e, v18
	v_fma_f16 v28, v22, s14, v28
	v_add_f16_e32 v30, v30, v32
	v_fma_f16 v32, v26, s14, v31
	v_add_f16_e32 v27, v28, v27
	v_fma_f16 v28, v26, s14, -v31
	v_mul_f16_e32 v31, 0x3770, v19
	v_add_f16_e32 v28, v28, v34
	v_fma_f16 v34, v22, s7, -v31
	v_add_f16_e32 v32, v32, v36
	v_add_f16_e32 v36, v34, v37
	v_mul_f16_e32 v34, 0x3770, v18
	v_fma_f16 v31, v22, s7, v31
	v_add_f16_e32 v35, v31, v35
	v_fma_f16 v31, v26, s7, -v34
	v_add_f16_e32 v38, v31, v38
	v_mul_f16_e32 v31, 0xbbf1, v19
	v_fma_f16 v37, v26, s7, v34
	v_fma_f16 v34, v22, s4, -v31
	v_add_f16_e32 v37, v37, v40
	v_add_f16_e32 v40, v34, v41
	v_mul_f16_e32 v34, 0xbbf1, v18
	v_fma_f16 v31, v22, s4, v31
	v_add_f16_e32 v39, v31, v39
	v_fma_f16 v31, v26, s4, -v34
	v_add_f16_e32 v46, v46, v52
	v_add_f16_e32 v52, v31, v42
	v_mul_f16_e32 v31, 0x33a8, v19
	v_fma_f16 v41, v26, s4, v34
	v_fma_f16 v34, v22, s15, -v31
	v_add_f16_e32 v53, v53, v57
	v_add_f16_e32 v45, v34, v45
	v_mul_f16_e32 v34, 0x33a8, v18
	v_fma_f16 v31, v22, s15, v31
	v_add_f16_e32 v49, v49, v53
	v_add_f16_e32 v53, v31, v43
	v_fma_f16 v31, v26, s15, -v34
	v_mul_f16_e32 v19, 0x3a95, v19
	v_add_f16_e32 v54, v54, v56
	v_add_f16_e32 v46, v31, v46
	v_fma_f16 v31, v22, s5, -v19
	v_mul_f16_e32 v18, 0x3a95, v18
	v_add_f16_e32 v56, v48, v16
	v_sub_f16_e32 v16, v48, v16
	v_sub_f16_e32 v48, v25, v17
	v_add_f16_e32 v55, v55, v58
	v_add_f16_e32 v49, v31, v49
	v_fma_f16 v31, v26, s5, v18
	v_fma_f16 v18, v26, s5, -v18
	v_add_f16_e32 v57, v25, v17
	v_mul_f16_e32 v17, 0xb94e, v48
	v_add_f16_e32 v51, v51, v55
	v_add_f16_e32 v55, v18, v21
	v_fma_f16 v18, v56, s14, -v17
	v_add_f16_e32 v51, v31, v51
	v_add_f16_e32 v31, v18, v29
	v_mul_f16_e32 v18, 0xb94e, v16
	v_fma_f16 v17, v56, s14, v17
	v_add_f16_e32 v42, v17, v23
	v_fma_f16 v17, v57, s14, -v18
	v_fma_f16 v19, v22, s5, v19
	v_add_f16_e32 v43, v17, v24
	v_mul_f16_e32 v17, 0x3bf1, v48
	v_add_f16_e32 v50, v50, v54
	v_add_f16_e32 v54, v19, v20
	v_fma_f16 v19, v57, s14, v18
	v_fma_f16 v18, v56, s4, -v17
	v_add_f16_e32 v47, v41, v44
	v_add_f16_e32 v44, v18, v30
	v_mul_f16_e32 v18, 0x3bf1, v16
	v_fma_f16 v41, v26, s15, v34
	v_add_f16_e32 v34, v19, v33
	v_fma_f16 v19, v57, s4, v18
	v_mul_f16_e32 v22, 0xba95, v48
	v_add_f16_e32 v21, v19, v32
	v_fma_f16 v19, v56, s5, -v22
	v_mul_f16_e32 v23, 0xba95, v16
	v_fma_f16 v22, v56, s5, v22
	v_fma_f16 v20, v57, s5, v23
	v_add_f16_e32 v26, v22, v35
	v_fma_f16 v22, v57, s5, -v23
	v_mul_f16_e32 v23, 0x33a8, v48
	v_fma_f16 v17, v56, s4, v17
	v_add_f16_e32 v29, v22, v38
	v_fma_f16 v22, v56, s15, -v23
	v_fma_f16 v23, v56, s15, v23
	v_add_f16_e32 v17, v17, v27
	v_add_f16_e32 v27, v23, v39
	v_mul_f16_e32 v32, 0xbb7b, v48
	v_mul_lo_u32 v39, v12, v13
	v_mul_f16_e32 v24, 0x33a8, v16
	v_mul_f16_e32 v30, 0x3770, v16
	v_fma_f16 v33, v56, s6, -v32
	v_mul_f16_e32 v16, 0xbb7b, v16
	v_add_f16_e32 v20, v20, v37
	v_add_f16_e32 v37, v33, v49
	v_fma_f16 v33, v57, s6, v16
	v_fma_f16 v32, v56, s6, v32
	v_fma_f16 v16, v57, s6, -v16
	v_add_f16_e32 v38, v33, v51
	v_add_f16_e32 v33, v32, v54
	;; [unrolled: 1-line block ×3, first 2 shown]
	v_mov_b32_e32 v16, 2
	v_add_f16_e32 v50, v41, v50
	v_fma_f16 v18, v57, s4, -v18
	v_add_f16_e32 v19, v19, v36
	v_add_f16_e32 v41, v22, v40
	v_fma_f16 v22, v57, s15, v24
	v_fma_f16 v25, v57, s7, v30
	v_add_f16_e32 v36, v2, v14
	v_sub_f16_e32 v49, v2, v14
	v_lshlrev_b32_sdwa v2, v16, v39 dst_sel:DWORD dst_unused:UNUSED_PAD src0_sel:DWORD src1_sel:BYTE_0
	v_add_f16_e32 v18, v18, v28
	v_add_f16_e32 v22, v22, v47
	v_mul_f16_e32 v28, 0x3770, v48
	v_add_f16_e32 v25, v25, v50
	v_add_f16_e32 v35, v3, v15
	v_sub_f16_e32 v50, v3, v15
	v_lshlrev_b32_sdwa v3, v16, v39 dst_sel:DWORD dst_unused:UNUSED_PAD src0_sel:DWORD src1_sel:BYTE_1
	global_load_dword v47, v2, s[12:13]
	global_load_dword v48, v3, s[12:13] offset:1024
	v_mul_f16_e32 v2, 0xb3a8, v50
	v_fma_f16 v3, v36, s15, -v2
	v_add_f16_e32 v39, v3, v31
	v_mul_f16_e32 v3, 0xb3a8, v49
	v_fma_f16 v14, v35, s15, v3
	v_add_f16_e32 v40, v14, v34
	v_fma_f16 v2, v36, s15, v2
	v_add_u32_e32 v34, 13, v13
	v_add_f16_e32 v2, v2, v42
	v_mul_f16_e32 v14, 0x3770, v50
	v_mul_lo_u32 v42, v12, v34
	v_fma_f16 v15, v36, s7, -v14
	v_add_f16_e32 v31, v15, v44
	v_mul_f16_e32 v15, 0x3770, v49
	v_fma_f16 v34, v35, s7, v15
	v_fma_f16 v23, v57, s15, -v24
	v_fma_f16 v24, v56, s7, -v28
	;; [unrolled: 1-line block ×3, first 2 shown]
	v_add_f16_e32 v34, v34, v21
	v_lshlrev_b32_sdwa v21, v16, v42 dst_sel:DWORD dst_unused:UNUSED_PAD src0_sel:DWORD src1_sel:BYTE_0
	v_add_f16_e32 v24, v24, v45
	v_add_f16_e32 v30, v30, v46
	v_lshlrev_b32_sdwa v42, v16, v42 dst_sel:DWORD dst_unused:UNUSED_PAD src0_sel:DWORD src1_sel:BYTE_1
	global_load_dword v45, v21, s[12:13]
	global_load_dword v46, v42, s[12:13] offset:1024
	v_fma_f16 v14, v36, s7, v14
	v_add_f16_e32 v14, v14, v17
	v_fma_f16 v15, v35, s7, -v15
	v_mul_f16_e32 v17, 0xb94e, v50
	v_add_f16_e32 v15, v15, v18
	v_fma_f16 v18, v36, s14, -v17
	v_add_f16_e32 v19, v18, v19
	v_mul_f16_e32 v18, 0xb94e, v49
	v_fma_f16 v21, v35, s14, v18
	v_fma_f16 v18, v35, s14, -v18
	v_add_f16_e32 v18, v18, v29
	v_mul_f16_e32 v29, 0x3a95, v50
	v_add_f16_e32 v21, v21, v20
	v_fma_f16 v20, v36, s5, -v29
	v_add_f16_e32 v20, v20, v41
	v_add_u32_e32 v41, 26, v13
	v_fma_f16 v3, v35, s15, -v3
	v_mul_lo_u32 v41, v12, v41
	v_add_f16_e32 v3, v3, v43
	v_fma_f16 v17, v36, s14, v17
	v_mul_f16_e32 v43, 0x3a95, v49
	v_add_f16_e32 v17, v17, v26
	v_fma_f16 v26, v35, s5, v43
	v_add_f16_e32 v26, v26, v22
	v_fma_f16 v22, v36, s5, v29
	v_add_f16_e32 v22, v22, v27
	v_lshlrev_b32_sdwa v27, v16, v41 dst_sel:DWORD dst_unused:UNUSED_PAD src0_sel:DWORD src1_sel:BYTE_0
	v_lshlrev_b32_sdwa v29, v16, v41 dst_sel:DWORD dst_unused:UNUSED_PAD src0_sel:DWORD src1_sel:BYTE_1
	global_load_dword v41, v27, s[12:13]
	global_load_dword v42, v29, s[12:13] offset:1024
	v_add_f16_e32 v23, v23, v52
	v_fma_f16 v27, v35, s5, -v43
	v_mul_f16_e32 v43, 0xbb7b, v50
	v_add_f16_e32 v23, v27, v23
	v_fma_f16 v27, v36, s6, -v43
	v_mul_f16_e32 v44, 0xbb7b, v49
	v_fma_f16 v28, v56, s7, v28
	v_add_f16_e32 v27, v27, v24
	v_fma_f16 v24, v35, s6, v44
	v_add_f16_e32 v28, v28, v53
	v_add_f16_e32 v29, v24, v25
	v_fma_f16 v24, v36, s6, v43
	v_mul_f16_e32 v43, 0x3bf1, v50
	v_add_f16_e32 v24, v24, v28
	v_fma_f16 v28, v36, s4, -v43
	v_fma_f16 v25, v35, s6, -v44
	v_add_f16_e32 v28, v28, v37
	v_mul_f16_e32 v37, 0x3bf1, v49
	v_add_f16_e32 v25, v25, v30
	v_fma_f16 v30, v35, s4, v37
	v_add_f16_e32 v30, v30, v38
	v_add_u32_e32 v38, 39, v13
	v_mul_lo_u32 v38, v12, v38
	v_fma_f16 v37, v35, s4, -v37
	v_fma_f16 v36, v36, s4, v43
	v_add_f16_e32 v32, v37, v32
	v_lshlrev_b32_sdwa v43, v16, v38 dst_sel:DWORD dst_unused:UNUSED_PAD src0_sel:DWORD src1_sel:BYTE_0
	v_lshlrev_b32_sdwa v38, v16, v38 dst_sel:DWORD dst_unused:UNUSED_PAD src0_sel:DWORD src1_sel:BYTE_1
	s_waitcnt vmcnt(5)
	v_lshrrev_b32_e32 v37, 16, v47
	v_add_f16_e32 v33, v36, v33
	global_load_dword v35, v43, s[12:13]
	global_load_dword v36, v38, s[12:13] offset:1024
	s_waitcnt vmcnt(6)
	v_mul_f16_sdwa v38, v37, v48 dst_sel:DWORD dst_unused:UNUSED_PAD src0_sel:DWORD src1_sel:WORD_1
	v_fma_f16 v44, v47, v48, -v38
	v_add_u32_e32 v38, 52, v13
	v_mul_lo_u32 v38, v12, v38
	v_mul_f16_sdwa v43, v47, v48 dst_sel:DWORD dst_unused:UNUSED_PAD src0_sel:DWORD src1_sel:WORD_1
	v_fma_f16 v47, v37, v48, v43
	v_mul_f16_e32 v37, v1, v47
	v_lshlrev_b32_sdwa v48, v16, v38 dst_sel:DWORD dst_unused:UNUSED_PAD src0_sel:DWORD src1_sel:BYTE_0
	v_lshlrev_b32_sdwa v49, v16, v38 dst_sel:DWORD dst_unused:UNUSED_PAD src0_sel:DWORD src1_sel:BYTE_1
	global_load_dword v38, v48, s[12:13]
	global_load_dword v43, v49, s[12:13] offset:1024
	v_add_u32_e32 v48, 0x41, v13
	v_mul_lo_u32 v48, v12, v48
	v_fma_f16 v37, v0, v44, -v37
	v_mul_f16_e32 v0, v0, v47
	v_fma_f16 v0, v1, v44, v0
	v_lshlrev_b32_sdwa v47, v16, v48 dst_sel:DWORD dst_unused:UNUSED_PAD src0_sel:DWORD src1_sel:BYTE_0
	v_lshlrev_b32_sdwa v48, v16, v48 dst_sel:DWORD dst_unused:UNUSED_PAD src0_sel:DWORD src1_sel:BYTE_1
	global_load_dword v1, v47, s[12:13]
	global_load_dword v44, v48, s[12:13] offset:1024
	v_add_u32_e32 v47, 0x4e, v13
	v_mul_lo_u32 v47, v12, v47
	s_waitcnt vmcnt(9)
	v_lshrrev_b32_e32 v49, 16, v45
	s_waitcnt vmcnt(8)
	v_mul_f16_sdwa v48, v49, v46 dst_sel:DWORD dst_unused:UNUSED_PAD src0_sel:DWORD src1_sel:WORD_1
	v_fma_f16 v50, v45, v46, -v48
	v_lshlrev_b32_sdwa v51, v16, v47 dst_sel:DWORD dst_unused:UNUSED_PAD src0_sel:DWORD src1_sel:BYTE_0
	v_lshlrev_b32_sdwa v52, v16, v47 dst_sel:DWORD dst_unused:UNUSED_PAD src0_sel:DWORD src1_sel:BYTE_1
	global_load_dword v47, v51, s[12:13]
	global_load_dword v48, v52, s[12:13] offset:1024
	v_add_u32_e32 v51, 0x5b, v13
	v_mul_lo_u32 v51, v12, v51
	v_mul_f16_sdwa v45, v45, v46 dst_sel:DWORD dst_unused:UNUSED_PAD src0_sel:DWORD src1_sel:WORD_1
	v_fma_f16 v49, v49, v46, v45
	v_mul_f16_e32 v52, v49, v40
	v_lshlrev_b32_sdwa v53, v16, v51 dst_sel:DWORD dst_unused:UNUSED_PAD src0_sel:DWORD src1_sel:BYTE_0
	v_lshlrev_b32_sdwa v51, v16, v51 dst_sel:DWORD dst_unused:UNUSED_PAD src0_sel:DWORD src1_sel:BYTE_1
	global_load_dword v45, v53, s[12:13]
	global_load_dword v46, v51, s[12:13] offset:1024
	v_add_u32_e32 v51, 0x68, v13
	v_mul_lo_u32 v51, v12, v51
	v_fma_f16 v52, v50, v39, -v52
	v_mul_f16_e32 v39, v49, v39
	v_fma_f16 v39, v50, v40, v39
	v_lshlrev_b32_sdwa v40, v16, v51 dst_sel:DWORD dst_unused:UNUSED_PAD src0_sel:DWORD src1_sel:BYTE_0
	v_lshlrev_b32_sdwa v49, v16, v51 dst_sel:DWORD dst_unused:UNUSED_PAD src0_sel:DWORD src1_sel:BYTE_1
	global_load_dword v50, v40, s[12:13]
	global_load_dword v51, v49, s[12:13] offset:1024
	v_add_u32_e32 v40, 0x75, v13
	v_mul_lo_u32 v40, v12, v40
	v_pack_b32_f16 v0, v37, v0
	v_lshlrev_b32_sdwa v54, v16, v40 dst_sel:DWORD dst_unused:UNUSED_PAD src0_sel:DWORD src1_sel:BYTE_0
	v_lshlrev_b32_sdwa v40, v16, v40 dst_sel:DWORD dst_unused:UNUSED_PAD src0_sel:DWORD src1_sel:BYTE_1
	global_load_dword v55, v54, s[12:13]
	global_load_dword v56, v40, s[12:13] offset:1024
	v_add_u32_e32 v40, 0x82, v13
	v_mul_lo_u32 v40, v12, v40
	s_waitcnt vmcnt(15)
	v_lshrrev_b32_e32 v49, 16, v41
	s_waitcnt vmcnt(14)
	v_mul_f16_sdwa v53, v49, v42 dst_sel:DWORD dst_unused:UNUSED_PAD src0_sel:DWORD src1_sel:WORD_1
	v_fma_f16 v53, v41, v42, -v53
	v_mul_f16_sdwa v41, v41, v42 dst_sel:DWORD dst_unused:UNUSED_PAD src0_sel:DWORD src1_sel:WORD_1
	v_fma_f16 v41, v49, v42, v41
	v_lshlrev_b32_sdwa v49, v16, v40 dst_sel:DWORD dst_unused:UNUSED_PAD src0_sel:DWORD src1_sel:BYTE_0
	v_lshlrev_b32_sdwa v40, v16, v40 dst_sel:DWORD dst_unused:UNUSED_PAD src0_sel:DWORD src1_sel:BYTE_1
	global_load_dword v54, v49, s[12:13]
	global_load_dword v57, v40, s[12:13] offset:1024
	v_add_u32_e32 v40, 0x8f, v13
	v_mul_lo_u32 v40, v12, v40
	v_mul_f16_e32 v42, v34, v41
	v_fma_f16 v42, v31, v53, -v42
	v_mul_f16_e32 v31, v31, v41
	v_fma_f16 v31, v34, v53, v31
	v_lshlrev_b32_sdwa v34, v16, v40 dst_sel:DWORD dst_unused:UNUSED_PAD src0_sel:DWORD src1_sel:BYTE_0
	v_add_u32_e32 v13, 0x9c, v13
	v_lshlrev_b32_sdwa v40, v16, v40 dst_sel:DWORD dst_unused:UNUSED_PAD src0_sel:DWORD src1_sel:BYTE_1
	global_load_dword v41, v34, s[12:13]
	global_load_dword v49, v40, s[12:13] offset:1024
	v_mul_lo_u32 v12, v12, v13
	v_lshlrev_b32_sdwa v40, v16, v12 dst_sel:DWORD dst_unused:UNUSED_PAD src0_sel:DWORD src1_sel:BYTE_0
	v_lshlrev_b32_sdwa v12, v16, v12 dst_sel:DWORD dst_unused:UNUSED_PAD src0_sel:DWORD src1_sel:BYTE_1
	global_load_dword v16, v40, s[12:13]
	global_load_dword v53, v12, s[12:13] offset:1024
	s_waitcnt vmcnt(19)
	v_lshrrev_b32_e32 v13, 16, v35
	s_waitcnt vmcnt(18)
	v_mul_f16_sdwa v12, v35, v36 dst_sel:DWORD dst_unused:UNUSED_PAD src0_sel:DWORD src1_sel:WORD_1
	v_mul_f16_sdwa v34, v13, v36 dst_sel:DWORD dst_unused:UNUSED_PAD src0_sel:DWORD src1_sel:WORD_1
	v_fma_f16 v12, v13, v36, v12
	v_fma_f16 v34, v35, v36, -v34
	v_mul_f16_e32 v13, v21, v12
	v_mul_f16_e32 v12, v19, v12
	v_fma_f16 v13, v19, v34, -v13
	v_fma_f16 v12, v21, v34, v12
	s_waitcnt vmcnt(0)
	s_barrier
	v_lshrrev_b32_e32 v19, 16, v38
	v_mul_f16_sdwa v34, v38, v43 dst_sel:DWORD dst_unused:UNUSED_PAD src0_sel:DWORD src1_sel:WORD_1
	v_mul_f16_sdwa v21, v19, v43 dst_sel:DWORD dst_unused:UNUSED_PAD src0_sel:DWORD src1_sel:WORD_1
	v_fma_f16 v19, v19, v43, v34
	v_fma_f16 v21, v38, v43, -v21
	v_mul_f16_e32 v34, v26, v19
	v_fma_f16 v34, v20, v21, -v34
	v_mul_f16_e32 v19, v20, v19
	v_lshrrev_b32_e32 v20, 16, v1
	v_fma_f16 v19, v26, v21, v19
	v_mul_f16_sdwa v21, v20, v44 dst_sel:DWORD dst_unused:UNUSED_PAD src0_sel:DWORD src1_sel:WORD_1
	v_fma_f16 v21, v1, v44, -v21
	v_mul_f16_sdwa v1, v1, v44 dst_sel:DWORD dst_unused:UNUSED_PAD src0_sel:DWORD src1_sel:WORD_1
	v_fma_f16 v1, v20, v44, v1
	v_mul_f16_e32 v20, v29, v1
	v_mul_f16_e32 v1, v27, v1
	v_fma_f16 v20, v27, v21, -v20
	v_fma_f16 v1, v29, v21, v1
	v_lshrrev_b32_e32 v21, 16, v47
	v_mul_f16_sdwa v27, v47, v48 dst_sel:DWORD dst_unused:UNUSED_PAD src0_sel:DWORD src1_sel:WORD_1
	v_mul_f16_sdwa v26, v21, v48 dst_sel:DWORD dst_unused:UNUSED_PAD src0_sel:DWORD src1_sel:WORD_1
	v_fma_f16 v21, v21, v48, v27
	v_fma_f16 v26, v47, v48, -v26
	v_mul_f16_e32 v27, v30, v21
	v_mul_f16_e32 v21, v28, v21
	v_fma_f16 v27, v28, v26, -v27
	v_fma_f16 v21, v30, v26, v21
	v_lshrrev_b32_e32 v26, 16, v45
	v_mul_f16_sdwa v29, v45, v46 dst_sel:DWORD dst_unused:UNUSED_PAD src0_sel:DWORD src1_sel:WORD_1
	v_mul_f16_sdwa v28, v26, v46 dst_sel:DWORD dst_unused:UNUSED_PAD src0_sel:DWORD src1_sel:WORD_1
	v_fma_f16 v26, v26, v46, v29
	v_fma_f16 v28, v45, v46, -v28
	;; [unrolled: 9-line block ×3, first 2 shown]
	v_mul_f16_e32 v32, v25, v28
	v_fma_f16 v32, v24, v30, -v32
	v_mul_f16_e32 v24, v24, v28
	v_fma_f16 v24, v25, v30, v24
	v_lshrrev_b32_e32 v25, 16, v55
	v_mul_f16_sdwa v30, v55, v56 dst_sel:DWORD dst_unused:UNUSED_PAD src0_sel:DWORD src1_sel:WORD_1
	v_mul_f16_sdwa v28, v25, v56 dst_sel:DWORD dst_unused:UNUSED_PAD src0_sel:DWORD src1_sel:WORD_1
	v_fma_f16 v25, v25, v56, v30
	v_fma_f16 v28, v55, v56, -v28
	v_mul_f16_e32 v30, v23, v25
	v_fma_f16 v30, v22, v28, -v30
	v_mul_f16_e32 v22, v22, v25
	v_fma_f16 v22, v23, v28, v22
	v_lshrrev_b32_e32 v23, 16, v54
	v_mul_f16_sdwa v28, v54, v57 dst_sel:DWORD dst_unused:UNUSED_PAD src0_sel:DWORD src1_sel:WORD_1
	v_mul_f16_sdwa v25, v23, v57 dst_sel:DWORD dst_unused:UNUSED_PAD src0_sel:DWORD src1_sel:WORD_1
	v_fma_f16 v23, v23, v57, v28
	v_fma_f16 v25, v54, v57, -v25
	;; [unrolled: 9-line block ×3, first 2 shown]
	v_mul_f16_e32 v25, v15, v18
	v_fma_f16 v25, v14, v23, -v25
	v_mul_f16_e32 v14, v14, v18
	v_fma_f16 v14, v15, v23, v14
	v_lshrrev_b32_e32 v15, 16, v16
	v_mul_f16_sdwa v18, v15, v53 dst_sel:DWORD dst_unused:UNUSED_PAD src0_sel:DWORD src1_sel:WORD_1
	v_fma_f16 v18, v16, v53, -v18
	v_mul_f16_sdwa v16, v16, v53 dst_sel:DWORD dst_unused:UNUSED_PAD src0_sel:DWORD src1_sel:WORD_1
	v_fma_f16 v15, v15, v53, v16
	v_mul_f16_e32 v16, v3, v15
	v_fma_f16 v16, v2, v18, -v16
	v_mul_f16_e32 v2, v2, v15
	v_fma_f16 v2, v3, v18, v2
	v_pack_b32_f16 v3, v52, v39
	ds_write2_b32 v11, v0, v3 offset1:13
	v_pack_b32_f16 v0, v42, v31
	v_pack_b32_f16 v3, v13, v12
	ds_write2_b32 v11, v0, v3 offset0:26 offset1:39
	v_pack_b32_f16 v0, v34, v19
	v_pack_b32_f16 v1, v20, v1
	ds_write2_b32 v11, v0, v1 offset0:52 offset1:65
	;; [unrolled: 3-line block ×5, first 2 shown]
	v_pack_b32_f16 v0, v16, v2
	ds_write_b32 v11, v0 offset:624
	s_waitcnt lgkmcnt(0)
	s_barrier
	s_and_saveexec_b64 s[4:5], s[0:1]
	s_cbranch_execz .LBB0_16
; %bb.15:
	v_mad_u64_u32 v[0:1], s[0:1], s10, v9, 0
	v_mad_u64_u32 v[2:3], s[0:1], s8, v4, 0
	;; [unrolled: 1-line block ×3, first 2 shown]
	v_mov_b32_e32 v1, v3
	v_mad_u64_u32 v[12:13], s[0:1], s9, v4, v[1:2]
	v_mov_b32_e32 v1, v11
	s_lshl_b64 s[0:1], s[2:3], 2
	s_add_u32 s0, s16, s0
	v_lshlrev_b64 v[0:1], 2, v[0:1]
	v_mul_u32_u24_e32 v9, 0x2a4, v9
	s_addc_u32 s1, s17, s1
	v_mov_b32_e32 v3, v12
	v_add3_u32 v12, 0, v9, v10
	v_mov_b32_e32 v9, s1
	v_add_co_u32_e32 v13, vcc, s0, v0
	v_addc_co_u32_e32 v14, vcc, v9, v1, vcc
	v_lshlrev_b64 v[0:1], 2, v[2:3]
	ds_read2_b32 v[2:3], v12 offset1:13
	v_mad_u64_u32 v[9:10], s[0:1], s8, v8, 0
	v_add_co_u32_e32 v0, vcc, v13, v0
	v_addc_co_u32_e32 v1, vcc, v14, v1, vcc
	s_waitcnt lgkmcnt(0)
	global_store_dword v[0:1], v2, off
	v_mov_b32_e32 v0, v10
	v_mad_u64_u32 v[0:1], s[0:1], s9, v8, v[0:1]
	v_mad_u64_u32 v[1:2], s[0:1], s8, v7, 0
	v_mov_b32_e32 v10, v0
	v_lshlrev_b64 v[8:9], 2, v[9:10]
	v_mov_b32_e32 v0, v2
	v_mad_u64_u32 v[10:11], s[0:1], s9, v7, v[0:1]
	v_add_co_u32_e32 v7, vcc, v13, v8
	v_addc_co_u32_e32 v8, vcc, v14, v9, vcc
	global_store_dword v[7:8], v3, off
	v_mov_b32_e32 v2, v10
	ds_read2_b32 v[7:8], v12 offset0:26 offset1:39
	v_lshlrev_b64 v[0:1], 2, v[1:2]
	v_mad_u64_u32 v[2:3], s[0:1], s8, v6, 0
	v_add_co_u32_e32 v0, vcc, v13, v0
	v_addc_co_u32_e32 v1, vcc, v14, v1, vcc
	s_waitcnt lgkmcnt(0)
	global_store_dword v[0:1], v7, off
	v_mov_b32_e32 v0, v3
	v_mad_u64_u32 v[0:1], s[0:1], s9, v6, v[0:1]
	v_mad_u64_u32 v[6:7], s[0:1], s8, v5, 0
	v_mov_b32_e32 v3, v0
	v_lshlrev_b64 v[0:1], 2, v[2:3]
	v_mov_b32_e32 v2, v7
	v_mad_u64_u32 v[2:3], s[0:1], s9, v5, v[2:3]
	v_add_co_u32_e32 v0, vcc, v13, v0
	v_addc_co_u32_e32 v1, vcc, v14, v1, vcc
	v_mov_b32_e32 v7, v2
	global_store_dword v[0:1], v8, off
	ds_read2_b32 v[0:1], v12 offset0:52 offset1:65
	v_lshlrev_b64 v[2:3], 2, v[6:7]
	v_add_u32_e32 v7, 0x41, v4
	v_mad_u64_u32 v[5:6], s[0:1], s8, v7, 0
	v_add_co_u32_e32 v2, vcc, v13, v2
	v_addc_co_u32_e32 v3, vcc, v14, v3, vcc
	s_waitcnt lgkmcnt(0)
	global_store_dword v[2:3], v0, off
	v_mov_b32_e32 v0, v6
	v_add_u32_e32 v9, 0x4e, v4
	v_mad_u64_u32 v[2:3], s[0:1], s9, v7, v[0:1]
	v_mad_u64_u32 v[7:8], s[0:1], s8, v9, 0
	v_mov_b32_e32 v6, v2
	v_lshlrev_b64 v[2:3], 2, v[5:6]
	v_mov_b32_e32 v0, v8
	v_mad_u64_u32 v[5:6], s[0:1], s9, v9, v[0:1]
	v_add_co_u32_e32 v2, vcc, v13, v2
	v_addc_co_u32_e32 v3, vcc, v14, v3, vcc
	v_mov_b32_e32 v8, v5
	global_store_dword v[2:3], v1, off
	ds_read2_b32 v[0:1], v12 offset0:78 offset1:91
	v_lshlrev_b64 v[2:3], 2, v[7:8]
	v_add_u32_e32 v7, 0x5b, v4
	v_mad_u64_u32 v[5:6], s[0:1], s8, v7, 0
	v_add_co_u32_e32 v2, vcc, v13, v2
	v_addc_co_u32_e32 v3, vcc, v14, v3, vcc
	s_waitcnt lgkmcnt(0)
	global_store_dword v[2:3], v0, off
	v_mov_b32_e32 v0, v6
	v_add_u32_e32 v9, 0x68, v4
	;; [unrolled: 20-line block ×3, first 2 shown]
	v_mad_u64_u32 v[2:3], s[0:1], s9, v7, v[0:1]
	v_mad_u64_u32 v[7:8], s[0:1], s8, v9, 0
	v_mov_b32_e32 v6, v2
	v_lshlrev_b64 v[2:3], 2, v[5:6]
	v_mov_b32_e32 v0, v8
	v_mad_u64_u32 v[5:6], s[0:1], s9, v9, v[0:1]
	v_add_co_u32_e32 v2, vcc, v13, v2
	v_addc_co_u32_e32 v3, vcc, v14, v3, vcc
	v_mov_b32_e32 v8, v5
	global_store_dword v[2:3], v1, off
	ds_read2_b32 v[0:1], v12 offset0:130 offset1:143
	v_lshlrev_b64 v[2:3], 2, v[7:8]
	v_add_u32_e32 v7, 0x8f, v4
	v_mad_u64_u32 v[5:6], s[0:1], s8, v7, 0
	v_add_co_u32_e32 v2, vcc, v13, v2
	v_addc_co_u32_e32 v3, vcc, v14, v3, vcc
	s_waitcnt lgkmcnt(0)
	global_store_dword v[2:3], v0, off
	v_mov_b32_e32 v0, v6
	v_mad_u64_u32 v[2:3], s[0:1], s9, v7, v[0:1]
	v_add_u32_e32 v7, 0x9c, v4
	v_mad_u64_u32 v[3:4], s[0:1], s8, v7, 0
	v_mov_b32_e32 v6, v2
	v_lshlrev_b64 v[5:6], 2, v[5:6]
	v_mov_b32_e32 v0, v4
	v_mad_u64_u32 v[7:8], s[0:1], s9, v7, v[0:1]
	v_add_co_u32_e32 v4, vcc, v13, v5
	v_addc_co_u32_e32 v5, vcc, v14, v6, vcc
	global_store_dword v[4:5], v1, off
	v_mov_b32_e32 v4, v7
	ds_read_b32 v2, v12 offset:624
	v_lshlrev_b64 v[0:1], 2, v[3:4]
	v_add_co_u32_e32 v0, vcc, v13, v0
	v_addc_co_u32_e32 v1, vcc, v14, v1, vcc
	s_waitcnt lgkmcnt(0)
	global_store_dword v[0:1], v2, off
.LBB0_16:
	s_endpgm
	.section	.rodata,"a",@progbits
	.p2align	6, 0x0
	.amdhsa_kernel fft_rtc_fwd_len169_factors_13_13_wgs_156_tpt_13_half_ip_CI_sbcc_twdbase8_2step
		.amdhsa_group_segment_fixed_size 0
		.amdhsa_private_segment_fixed_size 0
		.amdhsa_kernarg_size 96
		.amdhsa_user_sgpr_count 6
		.amdhsa_user_sgpr_private_segment_buffer 1
		.amdhsa_user_sgpr_dispatch_ptr 0
		.amdhsa_user_sgpr_queue_ptr 0
		.amdhsa_user_sgpr_kernarg_segment_ptr 1
		.amdhsa_user_sgpr_dispatch_id 0
		.amdhsa_user_sgpr_flat_scratch_init 0
		.amdhsa_user_sgpr_private_segment_size 0
		.amdhsa_uses_dynamic_stack 0
		.amdhsa_system_sgpr_private_segment_wavefront_offset 0
		.amdhsa_system_sgpr_workgroup_id_x 1
		.amdhsa_system_sgpr_workgroup_id_y 0
		.amdhsa_system_sgpr_workgroup_id_z 0
		.amdhsa_system_sgpr_workgroup_info 0
		.amdhsa_system_vgpr_workitem_id 0
		.amdhsa_next_free_vgpr 59
		.amdhsa_next_free_sgpr 45
		.amdhsa_reserve_vcc 1
		.amdhsa_reserve_flat_scratch 0
		.amdhsa_float_round_mode_32 0
		.amdhsa_float_round_mode_16_64 0
		.amdhsa_float_denorm_mode_32 3
		.amdhsa_float_denorm_mode_16_64 3
		.amdhsa_dx10_clamp 1
		.amdhsa_ieee_mode 1
		.amdhsa_fp16_overflow 0
		.amdhsa_exception_fp_ieee_invalid_op 0
		.amdhsa_exception_fp_denorm_src 0
		.amdhsa_exception_fp_ieee_div_zero 0
		.amdhsa_exception_fp_ieee_overflow 0
		.amdhsa_exception_fp_ieee_underflow 0
		.amdhsa_exception_fp_ieee_inexact 0
		.amdhsa_exception_int_div_zero 0
	.end_amdhsa_kernel
	.text
.Lfunc_end0:
	.size	fft_rtc_fwd_len169_factors_13_13_wgs_156_tpt_13_half_ip_CI_sbcc_twdbase8_2step, .Lfunc_end0-fft_rtc_fwd_len169_factors_13_13_wgs_156_tpt_13_half_ip_CI_sbcc_twdbase8_2step
                                        ; -- End function
	.section	.AMDGPU.csdata,"",@progbits
; Kernel info:
; codeLenInByte = 11176
; NumSgprs: 49
; NumVgprs: 59
; ScratchSize: 0
; MemoryBound: 0
; FloatMode: 240
; IeeeMode: 1
; LDSByteSize: 0 bytes/workgroup (compile time only)
; SGPRBlocks: 6
; VGPRBlocks: 14
; NumSGPRsForWavesPerEU: 49
; NumVGPRsForWavesPerEU: 59
; Occupancy: 4
; WaveLimiterHint : 1
; COMPUTE_PGM_RSRC2:SCRATCH_EN: 0
; COMPUTE_PGM_RSRC2:USER_SGPR: 6
; COMPUTE_PGM_RSRC2:TRAP_HANDLER: 0
; COMPUTE_PGM_RSRC2:TGID_X_EN: 1
; COMPUTE_PGM_RSRC2:TGID_Y_EN: 0
; COMPUTE_PGM_RSRC2:TGID_Z_EN: 0
; COMPUTE_PGM_RSRC2:TIDIG_COMP_CNT: 0
	.type	__hip_cuid_7ac91d593b8c649a,@object ; @__hip_cuid_7ac91d593b8c649a
	.section	.bss,"aw",@nobits
	.globl	__hip_cuid_7ac91d593b8c649a
__hip_cuid_7ac91d593b8c649a:
	.byte	0                               ; 0x0
	.size	__hip_cuid_7ac91d593b8c649a, 1

	.ident	"AMD clang version 19.0.0git (https://github.com/RadeonOpenCompute/llvm-project roc-6.4.0 25133 c7fe45cf4b819c5991fe208aaa96edf142730f1d)"
	.section	".note.GNU-stack","",@progbits
	.addrsig
	.addrsig_sym __hip_cuid_7ac91d593b8c649a
	.amdgpu_metadata
---
amdhsa.kernels:
  - .args:
      - .actual_access:  read_only
        .address_space:  global
        .offset:         0
        .size:           8
        .value_kind:     global_buffer
      - .address_space:  global
        .offset:         8
        .size:           8
        .value_kind:     global_buffer
      - .offset:         16
        .size:           8
        .value_kind:     by_value
      - .actual_access:  read_only
        .address_space:  global
        .offset:         24
        .size:           8
        .value_kind:     global_buffer
      - .actual_access:  read_only
        .address_space:  global
        .offset:         32
        .size:           8
        .value_kind:     global_buffer
      - .offset:         40
        .size:           8
        .value_kind:     by_value
      - .actual_access:  read_only
        .address_space:  global
        .offset:         48
        .size:           8
        .value_kind:     global_buffer
      - .actual_access:  read_only
        .address_space:  global
        .offset:         56
        .size:           8
        .value_kind:     global_buffer
      - .offset:         64
        .size:           4
        .value_kind:     by_value
      - .actual_access:  read_only
        .address_space:  global
        .offset:         72
        .size:           8
        .value_kind:     global_buffer
      - .actual_access:  read_only
        .address_space:  global
        .offset:         80
        .size:           8
        .value_kind:     global_buffer
      - .address_space:  global
        .offset:         88
        .size:           8
        .value_kind:     global_buffer
    .group_segment_fixed_size: 0
    .kernarg_segment_align: 8
    .kernarg_segment_size: 96
    .language:       OpenCL C
    .language_version:
      - 2
      - 0
    .max_flat_workgroup_size: 156
    .name:           fft_rtc_fwd_len169_factors_13_13_wgs_156_tpt_13_half_ip_CI_sbcc_twdbase8_2step
    .private_segment_fixed_size: 0
    .sgpr_count:     49
    .sgpr_spill_count: 0
    .symbol:         fft_rtc_fwd_len169_factors_13_13_wgs_156_tpt_13_half_ip_CI_sbcc_twdbase8_2step.kd
    .uniform_work_group_size: 1
    .uses_dynamic_stack: false
    .vgpr_count:     59
    .vgpr_spill_count: 0
    .wavefront_size: 64
amdhsa.target:   amdgcn-amd-amdhsa--gfx906
amdhsa.version:
  - 1
  - 2
...

	.end_amdgpu_metadata
